;; amdgpu-corpus repo=ROCm/rocFFT kind=compiled arch=gfx906 opt=O3
	.text
	.amdgcn_target "amdgcn-amd-amdhsa--gfx906"
	.amdhsa_code_object_version 6
	.protected	fft_rtc_fwd_len1275_factors_17_3_5_5_wgs_255_tpt_85_halfLds_dp_ip_CI_sbrr_dirReg ; -- Begin function fft_rtc_fwd_len1275_factors_17_3_5_5_wgs_255_tpt_85_halfLds_dp_ip_CI_sbrr_dirReg
	.globl	fft_rtc_fwd_len1275_factors_17_3_5_5_wgs_255_tpt_85_halfLds_dp_ip_CI_sbrr_dirReg
	.p2align	8
	.type	fft_rtc_fwd_len1275_factors_17_3_5_5_wgs_255_tpt_85_halfLds_dp_ip_CI_sbrr_dirReg,@function
fft_rtc_fwd_len1275_factors_17_3_5_5_wgs_255_tpt_85_halfLds_dp_ip_CI_sbrr_dirReg: ; @fft_rtc_fwd_len1275_factors_17_3_5_5_wgs_255_tpt_85_halfLds_dp_ip_CI_sbrr_dirReg
; %bb.0:
	s_load_dwordx2 s[2:3], s[4:5], 0x18
	s_load_dwordx4 s[8:11], s[4:5], 0x0
	s_load_dwordx2 s[14:15], s[4:5], 0x50
	v_mul_u32_u24_e32 v1, 0x304, v0
	v_lshrrev_b32_e32 v1, 16, v1
	v_mad_u64_u32 v[68:69], s[0:1], s6, 3, v[1:2]
	s_waitcnt lgkmcnt(0)
	s_load_dwordx2 s[12:13], s[2:3], 0x0
	v_mov_b32_e32 v3, 0
	v_cmp_lt_u64_e64 s[0:1], s[10:11], 2
	v_mov_b32_e32 v69, v3
	v_mov_b32_e32 v1, 0
	;; [unrolled: 1-line block ×3, first 2 shown]
	s_and_b64 vcc, exec, s[0:1]
	v_mov_b32_e32 v2, 0
	v_mov_b32_e32 v8, v69
	s_cbranch_vccnz .LBB0_8
; %bb.1:
	s_load_dwordx2 s[0:1], s[4:5], 0x10
	s_add_u32 s6, s2, 8
	s_addc_u32 s7, s3, 0
	v_mov_b32_e32 v1, 0
	v_mov_b32_e32 v5, v68
	s_waitcnt lgkmcnt(0)
	s_add_u32 s18, s0, 8
	s_mov_b64 s[16:17], 1
	v_mov_b32_e32 v2, 0
	s_addc_u32 s19, s1, 0
	v_mov_b32_e32 v6, v69
.LBB0_2:                                ; =>This Inner Loop Header: Depth=1
	s_load_dwordx2 s[20:21], s[18:19], 0x0
                                        ; implicit-def: $vgpr7_vgpr8
	s_waitcnt lgkmcnt(0)
	v_or_b32_e32 v4, s21, v6
	v_cmp_ne_u64_e32 vcc, 0, v[3:4]
	s_and_saveexec_b64 s[0:1], vcc
	s_xor_b64 s[22:23], exec, s[0:1]
	s_cbranch_execz .LBB0_4
; %bb.3:                                ;   in Loop: Header=BB0_2 Depth=1
	v_cvt_f32_u32_e32 v4, s20
	v_cvt_f32_u32_e32 v7, s21
	s_sub_u32 s0, 0, s20
	s_subb_u32 s1, 0, s21
	v_mac_f32_e32 v4, 0x4f800000, v7
	v_rcp_f32_e32 v4, v4
	v_mul_f32_e32 v4, 0x5f7ffffc, v4
	v_mul_f32_e32 v7, 0x2f800000, v4
	v_trunc_f32_e32 v7, v7
	v_mac_f32_e32 v4, 0xcf800000, v7
	v_cvt_u32_f32_e32 v7, v7
	v_cvt_u32_f32_e32 v4, v4
	v_mul_lo_u32 v8, s0, v7
	v_mul_hi_u32 v9, s0, v4
	v_mul_lo_u32 v11, s1, v4
	v_mul_lo_u32 v10, s0, v4
	v_add_u32_e32 v8, v9, v8
	v_add_u32_e32 v8, v8, v11
	v_mul_hi_u32 v9, v4, v10
	v_mul_lo_u32 v11, v4, v8
	v_mul_hi_u32 v13, v4, v8
	v_mul_hi_u32 v12, v7, v10
	v_mul_lo_u32 v10, v7, v10
	v_mul_hi_u32 v14, v7, v8
	v_add_co_u32_e32 v9, vcc, v9, v11
	v_addc_co_u32_e32 v11, vcc, 0, v13, vcc
	v_mul_lo_u32 v8, v7, v8
	v_add_co_u32_e32 v9, vcc, v9, v10
	v_addc_co_u32_e32 v9, vcc, v11, v12, vcc
	v_addc_co_u32_e32 v10, vcc, 0, v14, vcc
	v_add_co_u32_e32 v8, vcc, v9, v8
	v_addc_co_u32_e32 v9, vcc, 0, v10, vcc
	v_add_co_u32_e32 v4, vcc, v4, v8
	v_addc_co_u32_e32 v7, vcc, v7, v9, vcc
	v_mul_lo_u32 v8, s0, v7
	v_mul_hi_u32 v9, s0, v4
	v_mul_lo_u32 v10, s1, v4
	v_mul_lo_u32 v11, s0, v4
	v_add_u32_e32 v8, v9, v8
	v_add_u32_e32 v8, v8, v10
	v_mul_lo_u32 v12, v4, v8
	v_mul_hi_u32 v13, v4, v11
	v_mul_hi_u32 v14, v4, v8
	;; [unrolled: 1-line block ×3, first 2 shown]
	v_mul_lo_u32 v11, v7, v11
	v_mul_hi_u32 v9, v7, v8
	v_add_co_u32_e32 v12, vcc, v13, v12
	v_addc_co_u32_e32 v13, vcc, 0, v14, vcc
	v_mul_lo_u32 v8, v7, v8
	v_add_co_u32_e32 v11, vcc, v12, v11
	v_addc_co_u32_e32 v10, vcc, v13, v10, vcc
	v_addc_co_u32_e32 v9, vcc, 0, v9, vcc
	v_add_co_u32_e32 v8, vcc, v10, v8
	v_addc_co_u32_e32 v9, vcc, 0, v9, vcc
	v_add_co_u32_e32 v4, vcc, v4, v8
	v_addc_co_u32_e32 v9, vcc, v7, v9, vcc
	v_mad_u64_u32 v[7:8], s[0:1], v5, v9, 0
	v_mul_hi_u32 v10, v5, v4
	v_add_co_u32_e32 v11, vcc, v10, v7
	v_addc_co_u32_e32 v12, vcc, 0, v8, vcc
	v_mad_u64_u32 v[7:8], s[0:1], v6, v4, 0
	v_mad_u64_u32 v[9:10], s[0:1], v6, v9, 0
	v_add_co_u32_e32 v4, vcc, v11, v7
	v_addc_co_u32_e32 v4, vcc, v12, v8, vcc
	v_addc_co_u32_e32 v7, vcc, 0, v10, vcc
	v_add_co_u32_e32 v4, vcc, v4, v9
	v_addc_co_u32_e32 v9, vcc, 0, v7, vcc
	v_mul_lo_u32 v10, s21, v4
	v_mul_lo_u32 v11, s20, v9
	v_mad_u64_u32 v[7:8], s[0:1], s20, v4, 0
	v_add3_u32 v8, v8, v11, v10
	v_sub_u32_e32 v10, v6, v8
	v_mov_b32_e32 v11, s21
	v_sub_co_u32_e32 v7, vcc, v5, v7
	v_subb_co_u32_e64 v10, s[0:1], v10, v11, vcc
	v_subrev_co_u32_e64 v11, s[0:1], s20, v7
	v_subbrev_co_u32_e64 v10, s[0:1], 0, v10, s[0:1]
	v_cmp_le_u32_e64 s[0:1], s21, v10
	v_cndmask_b32_e64 v12, 0, -1, s[0:1]
	v_cmp_le_u32_e64 s[0:1], s20, v11
	v_cndmask_b32_e64 v11, 0, -1, s[0:1]
	v_cmp_eq_u32_e64 s[0:1], s21, v10
	v_cndmask_b32_e64 v10, v12, v11, s[0:1]
	v_add_co_u32_e64 v11, s[0:1], 2, v4
	v_addc_co_u32_e64 v12, s[0:1], 0, v9, s[0:1]
	v_add_co_u32_e64 v13, s[0:1], 1, v4
	v_addc_co_u32_e64 v14, s[0:1], 0, v9, s[0:1]
	v_subb_co_u32_e32 v8, vcc, v6, v8, vcc
	v_cmp_ne_u32_e64 s[0:1], 0, v10
	v_cmp_le_u32_e32 vcc, s21, v8
	v_cndmask_b32_e64 v10, v14, v12, s[0:1]
	v_cndmask_b32_e64 v12, 0, -1, vcc
	v_cmp_le_u32_e32 vcc, s20, v7
	v_cndmask_b32_e64 v7, 0, -1, vcc
	v_cmp_eq_u32_e32 vcc, s21, v8
	v_cndmask_b32_e32 v7, v12, v7, vcc
	v_cmp_ne_u32_e32 vcc, 0, v7
	v_cndmask_b32_e64 v7, v13, v11, s[0:1]
	v_cndmask_b32_e32 v8, v9, v10, vcc
	v_cndmask_b32_e32 v7, v4, v7, vcc
.LBB0_4:                                ;   in Loop: Header=BB0_2 Depth=1
	s_andn2_saveexec_b64 s[0:1], s[22:23]
	s_cbranch_execz .LBB0_6
; %bb.5:                                ;   in Loop: Header=BB0_2 Depth=1
	v_cvt_f32_u32_e32 v4, s20
	s_sub_i32 s22, 0, s20
	v_rcp_iflag_f32_e32 v4, v4
	v_mul_f32_e32 v4, 0x4f7ffffe, v4
	v_cvt_u32_f32_e32 v4, v4
	v_mul_lo_u32 v7, s22, v4
	v_mul_hi_u32 v7, v4, v7
	v_add_u32_e32 v4, v4, v7
	v_mul_hi_u32 v4, v5, v4
	v_mul_lo_u32 v7, v4, s20
	v_add_u32_e32 v8, 1, v4
	v_sub_u32_e32 v7, v5, v7
	v_subrev_u32_e32 v9, s20, v7
	v_cmp_le_u32_e32 vcc, s20, v7
	v_cndmask_b32_e32 v7, v7, v9, vcc
	v_cndmask_b32_e32 v4, v4, v8, vcc
	v_add_u32_e32 v8, 1, v4
	v_cmp_le_u32_e32 vcc, s20, v7
	v_cndmask_b32_e32 v7, v4, v8, vcc
	v_mov_b32_e32 v8, v3
.LBB0_6:                                ;   in Loop: Header=BB0_2 Depth=1
	s_or_b64 exec, exec, s[0:1]
	v_mul_lo_u32 v4, v8, s20
	v_mul_lo_u32 v11, v7, s21
	v_mad_u64_u32 v[9:10], s[0:1], v7, s20, 0
	s_load_dwordx2 s[0:1], s[6:7], 0x0
	s_add_u32 s16, s16, 1
	v_add3_u32 v4, v10, v11, v4
	v_sub_co_u32_e32 v5, vcc, v5, v9
	v_subb_co_u32_e32 v4, vcc, v6, v4, vcc
	s_waitcnt lgkmcnt(0)
	v_mul_lo_u32 v4, s0, v4
	v_mul_lo_u32 v6, s1, v5
	v_mad_u64_u32 v[1:2], s[0:1], s0, v5, v[1:2]
	s_addc_u32 s17, s17, 0
	s_add_u32 s6, s6, 8
	v_add3_u32 v2, v6, v2, v4
	v_mov_b32_e32 v4, s10
	v_mov_b32_e32 v5, s11
	s_addc_u32 s7, s7, 0
	v_cmp_ge_u64_e32 vcc, s[16:17], v[4:5]
	s_add_u32 s18, s18, 8
	s_addc_u32 s19, s19, 0
	s_cbranch_vccnz .LBB0_8
; %bb.7:                                ;   in Loop: Header=BB0_2 Depth=1
	v_mov_b32_e32 v5, v7
	v_mov_b32_e32 v6, v8
	s_branch .LBB0_2
.LBB0_8:
	s_lshl_b64 s[0:1], s[10:11], 3
	s_add_u32 s0, s2, s0
	s_addc_u32 s1, s3, s1
	s_load_dwordx2 s[2:3], s[0:1], 0x0
	s_load_dwordx2 s[6:7], s[4:5], 0x20
                                        ; implicit-def: $vgpr50_vgpr51
                                        ; implicit-def: $vgpr54_vgpr55
                                        ; implicit-def: $vgpr42_vgpr43
                                        ; implicit-def: $vgpr34_vgpr35
                                        ; implicit-def: $vgpr26_vgpr27
                                        ; implicit-def: $vgpr18_vgpr19
                                        ; implicit-def: $vgpr10_vgpr11
                                        ; implicit-def: $vgpr14_vgpr15
                                        ; implicit-def: $vgpr22_vgpr23
                                        ; implicit-def: $vgpr30_vgpr31
                                        ; implicit-def: $vgpr38_vgpr39
                                        ; implicit-def: $vgpr46_vgpr47
                                        ; implicit-def: $vgpr62_vgpr63
                                        ; implicit-def: $vgpr66_vgpr67
                                        ; implicit-def: $vgpr58_vgpr59
	s_waitcnt lgkmcnt(0)
	v_mad_u64_u32 v[1:2], s[0:1], s2, v7, v[1:2]
	s_mov_b32 s0, 0x3030304
	v_mul_lo_u32 v3, s2, v8
	v_mul_lo_u32 v4, s3, v7
	v_mul_hi_u32 v5, v0, s0
	v_cmp_gt_u64_e32 vcc, s[6:7], v[7:8]
	s_movk_i32 s0, 0x4b
	v_add3_u32 v2, v4, v2, v3
	v_mul_u32_u24_e32 v3, 0x55, v5
	v_sub_u32_e32 v98, v0, v3
	v_cmp_gt_u32_e64 s[0:1], s0, v98
	v_lshlrev_b64 v[96:97], 4, v[1:2]
	s_and_b64 s[2:3], vcc, s[0:1]
                                        ; implicit-def: $vgpr2_vgpr3
                                        ; implicit-def: $vgpr6_vgpr7
	s_and_saveexec_b64 s[4:5], s[2:3]
	s_cbranch_execz .LBB0_10
; %bb.9:
	v_mad_u64_u32 v[0:1], s[2:3], s12, v98, 0
	v_add_u32_e32 v5, 0x4b, v98
	v_mov_b32_e32 v4, s15
	v_mad_u64_u32 v[1:2], s[2:3], s13, v98, v[1:2]
	v_mad_u64_u32 v[2:3], s[2:3], s12, v5, 0
	v_add_co_u32_e64 v8, s[2:3], s14, v96
	v_addc_co_u32_e64 v9, s[2:3], v4, v97, s[2:3]
	v_mad_u64_u32 v[3:4], s[2:3], s13, v5, v[3:4]
	v_add_u32_e32 v6, 0x96, v98
	v_mad_u64_u32 v[4:5], s[2:3], s12, v6, 0
	v_lshlrev_b64 v[0:1], 4, v[0:1]
	v_add_co_u32_e64 v48, s[2:3], v8, v0
	v_addc_co_u32_e64 v49, s[2:3], v9, v1, s[2:3]
	v_lshlrev_b64 v[0:1], 4, v[2:3]
	v_mov_b32_e32 v2, v5
	v_mad_u64_u32 v[2:3], s[2:3], s13, v6, v[2:3]
	v_add_u32_e32 v3, 0xe1, v98
	v_mad_u64_u32 v[6:7], s[2:3], s12, v3, 0
	v_add_co_u32_e64 v50, s[2:3], v8, v0
	v_mov_b32_e32 v5, v2
	v_mov_b32_e32 v2, v7
	v_addc_co_u32_e64 v51, s[2:3], v9, v1, s[2:3]
	v_lshlrev_b64 v[0:1], 4, v[4:5]
	v_mad_u64_u32 v[2:3], s[2:3], s13, v3, v[2:3]
	v_add_u32_e32 v5, 0x12c, v98
	v_mad_u64_u32 v[3:4], s[2:3], s12, v5, 0
	v_add_co_u32_e64 v52, s[2:3], v8, v0
	v_mov_b32_e32 v7, v2
	v_mov_b32_e32 v2, v4
	v_addc_co_u32_e64 v53, s[2:3], v9, v1, s[2:3]
	v_lshlrev_b64 v[0:1], 4, v[6:7]
	v_mad_u64_u32 v[4:5], s[2:3], s13, v5, v[2:3]
	v_add_u32_e32 v7, 0x177, v98
	v_mad_u64_u32 v[5:6], s[2:3], s12, v7, 0
	v_add_co_u32_e64 v54, s[2:3], v8, v0
	v_mov_b32_e32 v2, v6
	v_addc_co_u32_e64 v55, s[2:3], v9, v1, s[2:3]
	v_lshlrev_b64 v[0:1], 4, v[3:4]
	v_mad_u64_u32 v[2:3], s[2:3], s13, v7, v[2:3]
	v_add_u32_e32 v7, 0x1c2, v98
	v_mad_u64_u32 v[3:4], s[2:3], s12, v7, 0
	v_add_co_u32_e64 v69, s[2:3], v8, v0
	v_mov_b32_e32 v6, v2
	v_mov_b32_e32 v2, v4
	v_addc_co_u32_e64 v70, s[2:3], v9, v1, s[2:3]
	v_lshlrev_b64 v[0:1], 4, v[5:6]
	v_mad_u64_u32 v[4:5], s[2:3], s13, v7, v[2:3]
	v_add_u32_e32 v7, 0x20d, v98
	v_mad_u64_u32 v[5:6], s[2:3], s12, v7, 0
	v_add_co_u32_e64 v71, s[2:3], v8, v0
	;; [unrolled: 15-line block ×6, first 2 shown]
	v_mov_b32_e32 v2, v6
	v_addc_co_u32_e64 v88, s[2:3], v9, v1, s[2:3]
	v_lshlrev_b64 v[0:1], 4, v[3:4]
	v_mad_u64_u32 v[2:3], s[2:3], s13, v7, v[2:3]
	v_add_u32_e32 v7, 0x4b0, v98
	v_mad_u64_u32 v[3:4], s[2:3], s12, v7, 0
	v_add_co_u32_e64 v89, s[2:3], v8, v0
	v_mov_b32_e32 v6, v2
	v_mov_b32_e32 v2, v4
	v_addc_co_u32_e64 v90, s[2:3], v9, v1, s[2:3]
	v_lshlrev_b64 v[0:1], 4, v[5:6]
	v_mad_u64_u32 v[4:5], s[2:3], s13, v7, v[2:3]
	v_add_co_u32_e64 v91, s[2:3], v8, v0
	v_addc_co_u32_e64 v92, s[2:3], v9, v1, s[2:3]
	v_lshlrev_b64 v[0:1], 4, v[3:4]
	v_add_co_u32_e64 v93, s[2:3], v8, v0
	v_addc_co_u32_e64 v94, s[2:3], v9, v1, s[2:3]
	global_load_dwordx4 v[56:59], v[48:49], off
	global_load_dwordx4 v[64:67], v[50:51], off
	;; [unrolled: 1-line block ×15, first 2 shown]
                                        ; kill: killed $vgpr69 killed $vgpr70
                                        ; kill: killed $vgpr87 killed $vgpr88
                                        ; kill: killed $vgpr71 killed $vgpr72
                                        ; kill: killed $vgpr89 killed $vgpr90
                                        ; kill: killed $vgpr73 killed $vgpr74
                                        ; kill: killed $vgpr75 killed $vgpr76
                                        ; kill: killed $vgpr77 killed $vgpr78
                                        ; kill: killed $vgpr48 killed $vgpr49
                                        ; kill: killed $vgpr79 killed $vgpr80
                                        ; kill: killed $vgpr50 killed $vgpr51
                                        ; kill: killed $vgpr81 killed $vgpr82
                                        ; kill: killed $vgpr52 killed $vgpr53
                                        ; kill: killed $vgpr83 killed $vgpr84
                                        ; kill: killed $vgpr54 killed $vgpr55
                                        ; kill: killed $vgpr85 killed $vgpr86
	global_load_dwordx4 v[52:55], v[91:92], off
	global_load_dwordx4 v[48:51], v[93:94], off
.LBB0_10:
	s_or_b64 exec, exec, s[4:5]
	s_mov_b32 s2, 0xaaaaaaab
	v_mul_hi_u32 v69, v68, s2
	v_lshrrev_b32_e32 v69, 1, v69
	v_lshl_add_u32 v69, v69, 1, v69
	v_sub_u32_e32 v68, v68, v69
	v_mul_u32_u24_e32 v68, 0x4fb, v68
	v_lshlrev_b32_e32 v99, 3, v68
	s_and_saveexec_b64 s[2:3], s[0:1]
	s_cbranch_execz .LBB0_12
; %bb.11:
	s_waitcnt vmcnt(15)
	v_add_f64 v[68:69], v[64:65], v[56:57]
	s_waitcnt vmcnt(0)
	v_add_f64 v[100:101], v[66:67], -v[50:51]
	s_mov_b32 s40, 0x5d8e7cdc
	s_mov_b32 s41, 0x3fd71e95
	;; [unrolled: 1-line block ×4, first 2 shown]
	v_add_f64 v[82:83], v[48:49], v[64:65]
	v_add_f64 v[102:103], v[62:63], -v[54:55]
	v_add_f64 v[68:69], v[60:61], v[68:69]
	v_mul_f64 v[90:91], v[100:101], s[46:47]
	s_mov_b32 s34, 0x2a9d6da3
	s_mov_b32 s4, 0x370991
	;; [unrolled: 1-line block ×6, first 2 shown]
	v_add_f64 v[68:69], v[44:45], v[68:69]
	v_add_f64 v[80:81], v[52:53], v[60:61]
	v_add_f64 v[104:105], v[46:47], -v[42:43]
	v_mul_f64 v[88:89], v[102:103], s[38:39]
	v_fma_f64 v[74:75], v[82:83], s[4:5], -v[90:91]
	s_mov_b32 s6, 0x75d4884
	s_mov_b32 s28, 0x7c9e640b
	;; [unrolled: 1-line block ×3, first 2 shown]
	v_add_f64 v[68:69], v[36:37], v[68:69]
	s_mov_b32 s29, 0x3feca52d
	s_mov_b32 s51, 0xbfeca52d
	;; [unrolled: 1-line block ×3, first 2 shown]
	v_add_f64 v[78:79], v[40:41], v[44:45]
	v_add_f64 v[106:107], v[38:39], -v[34:35]
	v_mul_f64 v[86:87], v[104:105], s[50:51]
	v_fma_f64 v[92:93], v[80:81], s[6:7], -v[88:89]
	v_add_f64 v[68:69], v[28:29], v[68:69]
	v_add_f64 v[74:75], v[56:57], v[74:75]
	s_mov_b32 s10, 0x2b2883cd
	s_mov_b32 s26, 0xeb564b22
	;; [unrolled: 1-line block ×6, first 2 shown]
	v_add_f64 v[70:71], v[20:21], v[68:69]
	v_add_f64 v[76:77], v[32:33], v[36:37]
	v_add_f64 v[108:109], v[30:31], -v[26:27]
	v_fma_f64 v[116:117], v[78:79], s[10:11], -v[86:87]
	v_add_f64 v[118:119], v[92:93], v[74:75]
	s_mov_b32 s16, 0x3259b75e
	s_mov_b32 s30, 0x923c349f
	;; [unrolled: 1-line block ×3, first 2 shown]
	v_add_f64 v[70:71], v[12:13], v[70:71]
	s_mov_b32 s31, 0xbfeec746
	v_mul_u32_u24_e32 v122, 0x88, v98
	v_add_f64 v[72:73], v[24:25], v[28:29]
	v_add_f64 v[110:111], v[22:23], -v[18:19]
	v_mul_f64 v[92:93], v[108:109], s[30:31]
	v_add_f64 v[116:117], v[116:117], v[118:119]
	s_mov_b32 s18, 0xc61f0d01
	v_add_f64 v[84:85], v[4:5], v[70:71]
	s_mov_b32 s36, 0x6c9a05f6
	s_mov_b32 s19, 0xbfd183b1
	;; [unrolled: 1-line block ×3, first 2 shown]
	v_add_f64 v[68:69], v[16:17], v[20:21]
	v_add_f64 v[112:113], v[14:15], -v[10:11]
	v_mul_f64 v[124:125], v[110:111], s[36:37]
	v_fma_f64 v[126:127], v[72:73], s[18:19], -v[92:93]
	v_add_f64 v[94:95], v[0:1], v[84:85]
	v_mul_f64 v[84:85], v[106:107], s[48:49]
	s_mov_b32 s20, 0x6ed5f1bb
	s_mov_b32 s44, 0x4363dd80
	;; [unrolled: 1-line block ×6, first 2 shown]
	v_add_f64 v[94:95], v[8:9], v[94:95]
	v_fma_f64 v[120:121], v[76:77], s[16:17], -v[84:85]
	s_mov_b32 s55, 0x3fc7851a
	s_mov_b32 s54, s42
	v_add_f64 v[70:71], v[8:9], v[12:13]
	v_add_f64 v[114:115], v[6:7], -v[2:3]
	v_mul_f64 v[130:131], v[112:113], s[44:45]
	v_fma_f64 v[132:133], v[68:69], s[20:21], -v[124:125]
	v_add_f64 v[118:119], v[16:17], v[94:95]
	v_add3_u32 v94, 0, v122, v99
	v_mul_f64 v[122:123], v[100:101], s[50:51]
	v_add_f64 v[116:117], v[120:121], v[116:117]
	v_mul_f64 v[120:121], v[102:103], s[36:37]
	s_mov_b32 s22, 0x910ea3b9
	s_mov_b32 s24, 0x7faef3
	;; [unrolled: 1-line block ×3, first 2 shown]
	v_add_f64 v[118:119], v[24:25], v[118:119]
	s_mov_b32 s25, 0xbfef7484
	v_fma_f64 v[128:129], v[82:83], s[10:11], -v[122:123]
	v_add_f64 v[116:117], v[126:127], v[116:117]
	v_mul_f64 v[126:127], v[104:105], s[54:55]
	v_fma_f64 v[134:135], v[80:81], s[20:21], -v[120:121]
	s_mov_b32 s53, 0x3feec746
	s_mov_b32 s52, s30
	v_add_f64 v[118:119], v[32:33], v[118:119]
	v_add_f64 v[74:75], v[0:1], v[4:5]
	;; [unrolled: 1-line block ×3, first 2 shown]
	v_mul_f64 v[136:137], v[114:115], s[42:43]
	v_fma_f64 v[138:139], v[70:71], s[22:23], -v[130:131]
	v_add_f64 v[116:117], v[132:133], v[116:117]
	v_mul_f64 v[132:133], v[100:101], s[38:39]
	v_mul_f64 v[140:141], v[106:107], s[52:53]
	v_add_f64 v[118:119], v[40:41], v[118:119]
	v_fma_f64 v[142:143], v[78:79], s[24:25], -v[126:127]
	v_add_f64 v[128:129], v[134:135], v[128:129]
	v_mul_f64 v[134:135], v[102:103], s[48:49]
	v_fma_f64 v[144:145], v[74:75], s[24:25], -v[136:137]
	v_add_f64 v[116:117], v[138:139], v[116:117]
	v_fma_f64 v[138:139], v[82:83], s[6:7], -v[132:133]
	v_mul_f64 v[146:147], v[108:109], s[34:35]
	v_add_f64 v[118:119], v[52:53], v[118:119]
	v_fma_f64 v[148:149], v[76:77], s[18:19], -v[140:141]
	v_add_f64 v[128:129], v[142:143], v[128:129]
	v_fma_f64 v[150:151], v[80:81], s[16:17], -v[134:135]
	v_mul_f64 v[142:143], v[100:101], s[30:31]
	v_add_f64 v[116:117], v[144:145], v[116:117]
	v_add_f64 v[138:139], v[56:57], v[138:139]
	v_mul_f64 v[144:145], v[104:105], s[36:37]
	v_add_f64 v[118:119], v[48:49], v[118:119]
	v_fma_f64 v[152:153], v[72:73], s[6:7], -v[146:147]
	v_add_f64 v[128:129], v[148:149], v[128:129]
	v_mul_f64 v[148:149], v[110:111], s[46:47]
	s_mov_b32 s57, 0x3fe0d888
	s_mov_b32 s56, s44
	v_mul_f64 v[154:155], v[102:103], s[56:57]
	v_fma_f64 v[156:157], v[82:83], s[18:19], -v[142:143]
	ds_write2_b64 v94, v[118:119], v[116:117] offset1:1
	v_add_f64 v[116:117], v[150:151], v[138:139]
	v_fma_f64 v[118:119], v[78:79], s[20:21], -v[144:145]
	v_mul_f64 v[138:139], v[106:107], s[42:43]
	v_add_f64 v[128:129], v[152:153], v[128:129]
	v_fma_f64 v[150:151], v[68:69], s[4:5], -v[148:149]
	v_mul_f64 v[152:153], v[112:113], s[48:49]
	v_mul_f64 v[162:163], v[108:109], s[56:57]
	v_add_f64 v[156:157], v[56:57], v[156:157]
	v_fma_f64 v[158:159], v[80:81], s[22:23], -v[154:155]
	v_add_f64 v[116:117], v[118:119], v[116:117]
	v_fma_f64 v[118:119], v[76:77], s[24:25], -v[138:139]
	v_mul_f64 v[160:161], v[104:105], s[34:35]
	v_add_f64 v[128:129], v[150:151], v[128:129]
	v_fma_f64 v[150:151], v[70:71], s[16:17], -v[152:153]
	v_mul_f64 v[168:169], v[110:111], s[52:53]
	v_mul_f64 v[164:165], v[114:115], s[44:45]
	v_add_f64 v[156:157], v[158:159], v[156:157]
	v_mul_f64 v[166:167], v[106:107], s[50:51]
	v_add_f64 v[116:117], v[118:119], v[116:117]
	v_fma_f64 v[118:119], v[72:73], s[22:23], -v[162:163]
	v_fma_f64 v[158:159], v[78:79], s[6:7], -v[160:161]
	v_add_f64 v[128:129], v[150:151], v[128:129]
	v_mul_f64 v[150:151], v[100:101], s[48:49]
	v_mul_f64 v[174:175], v[112:113], s[28:29]
	v_mul_f64 v[178:179], v[102:103], s[42:43]
	v_fma_f64 v[170:171], v[74:75], s[22:23], -v[164:165]
	v_mul_f64 v[172:173], v[108:109], s[42:43]
	v_add_f64 v[116:117], v[118:119], v[116:117]
	v_fma_f64 v[118:119], v[68:69], s[18:19], -v[168:169]
	v_add_f64 v[156:157], v[158:159], v[156:157]
	v_fma_f64 v[176:177], v[82:83], s[16:17], -v[150:151]
	v_fma_f64 v[158:159], v[76:77], s[10:11], -v[166:167]
	v_fma_f64 v[180:181], v[80:81], s[24:25], -v[178:179]
	v_mul_f64 v[182:183], v[104:105], s[52:53]
	v_add_f64 v[128:129], v[170:171], v[128:129]
	v_mul_f64 v[170:171], v[110:111], s[26:27]
	v_add_f64 v[116:117], v[118:119], v[116:117]
	v_fma_f64 v[118:119], v[70:71], s[10:11], -v[174:175]
	v_add_f64 v[176:177], v[56:57], v[176:177]
	v_add_f64 v[156:157], v[158:159], v[156:157]
	v_fma_f64 v[158:159], v[72:73], s[24:25], -v[172:173]
	v_mul_f64 v[184:185], v[114:115], s[40:41]
	v_mul_f64 v[188:189], v[106:107], s[40:41]
	v_mul_f64 v[186:187], v[112:113], s[46:47]
	v_mul_f64 v[196:197], v[102:103], s[28:29]
	v_add_f64 v[116:117], v[118:119], v[116:117]
	v_mul_f64 v[118:119], v[100:101], s[44:45]
	v_add_f64 v[176:177], v[180:181], v[176:177]
	v_fma_f64 v[180:181], v[78:79], s[18:19], -v[182:183]
	v_add_f64 v[156:157], v[158:159], v[156:157]
	v_fma_f64 v[158:159], v[68:69], s[16:17], -v[170:171]
	v_fma_f64 v[190:191], v[74:75], s[4:5], -v[184:185]
	v_mul_f64 v[198:199], v[108:109], s[50:51]
	v_mul_f64 v[192:193], v[114:115], s[36:37]
	v_fma_f64 v[194:195], v[82:83], s[22:23], -v[118:119]
	v_mul_f64 v[200:201], v[104:105], s[48:49]
	v_add_f64 v[176:177], v[180:181], v[176:177]
	v_fma_f64 v[180:181], v[76:77], s[4:5], -v[188:189]
	v_add_f64 v[156:157], v[158:159], v[156:157]
	v_fma_f64 v[158:159], v[70:71], s[4:5], -v[186:187]
	v_add_f64 v[116:117], v[190:191], v[116:117]
	v_mul_f64 v[204:205], v[110:111], s[44:45]
	v_add_f64 v[190:191], v[56:57], v[194:195]
	v_fma_f64 v[194:195], v[80:81], s[10:11], -v[196:197]
	s_mov_b32 s49, 0x3fe9895b
	v_add_f64 v[176:177], v[180:181], v[176:177]
	v_fma_f64 v[180:181], v[72:73], s[10:11], -v[198:199]
	s_mov_b32 s48, s36
	v_add_f64 v[156:157], v[158:159], v[156:157]
	v_fma_f64 v[158:159], v[74:75], s[20:21], -v[192:193]
	v_mul_f64 v[202:203], v[100:101], s[36:37]
	v_add_f64 v[190:191], v[194:195], v[190:191]
	v_fma_f64 v[194:195], v[78:79], s[16:17], -v[200:201]
	v_mul_f64 v[206:207], v[106:107], s[48:49]
	;; [unrolled: 3-line block ×7, first 2 shown]
	v_mul_f64 v[100:101], v[100:101], s[42:43]
	v_add_f64 v[190:191], v[194:195], v[190:191]
	v_fma_f64 v[194:195], v[72:73], s[4:5], -v[212:213]
	v_add_f64 v[176:177], v[180:181], v[176:177]
	v_mul_f64 v[180:181], v[110:111], s[42:43]
	v_fma_f64 v[224:225], v[74:75], s[6:7], -v[218:219]
	v_add_f64 v[158:159], v[214:215], v[158:159]
	v_fma_f64 v[214:215], v[78:79], s[4:5], -v[216:217]
	v_mul_f64 v[220:221], v[106:107], s[44:45]
	v_fma_f64 v[222:223], v[82:83], s[24:25], v[100:101]
	v_mul_f64 v[102:103], v[102:103], s[40:41]
	v_add_f64 v[190:191], v[194:195], v[190:191]
	v_fma_f64 v[226:227], v[68:69], s[24:25], -v[180:181]
	v_add_f64 v[176:177], v[224:225], v[176:177]
	v_mul_f64 v[224:225], v[112:113], s[34:35]
	v_add_f64 v[158:159], v[214:215], v[158:159]
	v_fma_f64 v[194:195], v[76:77], s[22:23], -v[220:221]
	v_mul_f64 v[214:215], v[108:109], s[26:27]
	v_add_f64 v[222:223], v[56:57], v[222:223]
	v_fma_f64 v[228:229], v[80:81], s[4:5], v[102:103]
	v_mul_f64 v[104:105], v[104:105], s[44:45]
	v_add_f64 v[190:191], v[226:227], v[190:191]
	v_fma_f64 v[230:231], v[70:71], s[6:7], -v[224:225]
	v_mul_f64 v[232:233], v[114:115], s[30:31]
	v_fma_f64 v[100:101], v[82:83], s[24:25], -v[100:101]
	v_add_f64 v[158:159], v[194:195], v[158:159]
	v_fma_f64 v[194:195], v[72:73], s[16:17], -v[214:215]
	v_mul_f64 v[226:227], v[110:111], s[38:39]
	v_add_f64 v[222:223], v[228:229], v[222:223]
	v_fma_f64 v[228:229], v[78:79], s[22:23], v[104:105]
	v_mul_f64 v[106:107], v[106:107], s[34:35]
	v_add_f64 v[190:191], v[230:231], v[190:191]
	v_fma_f64 v[102:103], v[80:81], s[4:5], -v[102:103]
	v_add_f64 v[100:101], v[56:57], v[100:101]
	v_fma_f64 v[230:231], v[74:75], s[18:19], -v[232:233]
	;; [unrolled: 2-line block ×3, first 2 shown]
	v_mul_f64 v[234:235], v[112:113], s[42:43]
	v_add_f64 v[222:223], v[228:229], v[222:223]
	v_fma_f64 v[228:229], v[76:77], s[6:7], v[106:107]
	v_mul_f64 v[108:109], v[108:109], s[36:37]
	v_fma_f64 v[118:119], v[82:83], s[22:23], v[118:119]
	v_add_f64 v[100:101], v[102:103], v[100:101]
	v_fma_f64 v[102:103], v[78:79], s[22:23], -v[104:105]
	v_add_f64 v[104:105], v[230:231], v[190:191]
	v_fma_f64 v[190:191], v[82:83], s[20:21], v[202:203]
	v_add_f64 v[158:159], v[194:195], v[158:159]
	v_fma_f64 v[194:195], v[70:71], s[24:25], -v[234:235]
	v_add_f64 v[222:223], v[228:229], v[222:223]
	v_fma_f64 v[228:229], v[72:73], s[20:21], v[108:109]
	v_mul_f64 v[110:111], v[110:111], s[28:29]
	v_fma_f64 v[196:197], v[80:81], s[10:11], v[196:197]
	v_add_f64 v[118:119], v[56:57], v[118:119]
	v_add_f64 v[100:101], v[102:103], v[100:101]
	v_fma_f64 v[102:103], v[76:77], s[6:7], -v[106:107]
	v_fma_f64 v[106:107], v[80:81], s[18:19], v[208:209]
	v_add_f64 v[190:191], v[56:57], v[190:191]
	v_add_f64 v[158:159], v[194:195], v[158:159]
	;; [unrolled: 1-line block ×3, first 2 shown]
	v_fma_f64 v[202:203], v[68:69], s[10:11], v[110:111]
	v_mul_f64 v[112:113], v[112:113], s[30:31]
	v_add_f64 v[118:119], v[196:197], v[118:119]
	v_fma_f64 v[196:197], v[78:79], s[16:17], v[200:201]
	v_add_f64 v[100:101], v[102:103], v[100:101]
	v_fma_f64 v[102:103], v[72:73], s[20:21], -v[108:109]
	v_add_f64 v[106:107], v[106:107], v[190:191]
	v_fma_f64 v[108:109], v[78:79], s[4:5], v[216:217]
	v_mul_f64 v[208:209], v[114:115], s[28:29]
	v_add_f64 v[194:195], v[202:203], v[194:195]
	v_fma_f64 v[190:191], v[70:71], s[18:19], v[112:113]
	v_add_f64 v[118:119], v[196:197], v[118:119]
	v_fma_f64 v[196:197], v[76:77], s[20:21], v[206:207]
	v_add_f64 v[100:101], v[102:103], v[100:101]
	v_fma_f64 v[102:103], v[68:69], s[10:11], -v[110:111]
	v_add_f64 v[106:107], v[108:109], v[106:107]
	v_fma_f64 v[108:109], v[76:77], s[22:23], v[220:221]
	v_fma_f64 v[200:201], v[74:75], s[10:11], -v[208:209]
	v_add_f64 v[110:111], v[190:191], v[194:195]
	v_fma_f64 v[142:143], v[82:83], s[18:19], v[142:143]
	v_add_f64 v[118:119], v[196:197], v[118:119]
	v_fma_f64 v[194:195], v[72:73], s[4:5], v[212:213]
	v_add_f64 v[100:101], v[102:103], v[100:101]
	v_fma_f64 v[102:103], v[70:71], s[18:19], -v[112:113]
	v_add_f64 v[106:107], v[108:109], v[106:107]
	v_fma_f64 v[108:109], v[72:73], s[16:17], v[214:215]
	v_add_f64 v[112:113], v[200:201], v[158:159]
	v_fma_f64 v[154:155], v[80:81], s[22:23], v[154:155]
	v_add_f64 v[142:143], v[56:57], v[142:143]
	v_add_f64 v[118:119], v[194:195], v[118:119]
	v_fma_f64 v[158:159], v[68:69], s[24:25], v[180:181]
	v_add_f64 v[100:101], v[102:103], v[100:101]
	v_fma_f64 v[122:123], v[82:83], s[10:11], v[122:123]
	;; [unrolled: 2-line block ×3, first 2 shown]
	v_fma_f64 v[132:133], v[82:83], s[6:7], v[132:133]
	v_fma_f64 v[82:83], v[82:83], s[4:5], v[90:91]
	;; [unrolled: 1-line block ×3, first 2 shown]
	v_add_f64 v[142:143], v[154:155], v[142:143]
	v_fma_f64 v[150:151], v[78:79], s[6:7], v[160:161]
	v_add_f64 v[118:119], v[158:159], v[118:119]
	v_fma_f64 v[158:159], v[80:81], s[24:25], v[178:179]
	v_add_f64 v[108:109], v[56:57], v[108:109]
	v_fma_f64 v[120:121], v[80:81], s[20:21], v[120:121]
	v_add_f64 v[122:123], v[56:57], v[122:123]
	v_fma_f64 v[134:135], v[80:81], s[16:17], v[134:135]
	v_add_f64 v[132:133], v[56:57], v[132:133]
	v_fma_f64 v[80:81], v[80:81], s[6:7], v[88:89]
	v_add_f64 v[56:57], v[56:57], v[82:83]
	v_add_f64 v[102:103], v[106:107], v[102:103]
	;; [unrolled: 1-line block ×4, first 2 shown]
	v_fma_f64 v[150:151], v[78:79], s[18:19], v[182:183]
	v_add_f64 v[90:91], v[120:121], v[122:123]
	v_fma_f64 v[120:121], v[78:79], s[24:25], v[126:127]
	v_add_f64 v[122:123], v[134:135], v[132:133]
	v_fma_f64 v[126:127], v[78:79], s[20:21], v[144:145]
	v_fma_f64 v[78:79], v[78:79], s[10:11], v[86:87]
	v_add_f64 v[56:57], v[80:81], v[56:57]
	v_fma_f64 v[82:83], v[76:77], s[4:5], v[188:189]
	v_add_f64 v[108:109], v[150:151], v[108:109]
	;; [unrolled: 2-line block ×4, first 2 shown]
	v_fma_f64 v[122:123], v[76:77], s[24:25], v[138:139]
	v_fma_f64 v[76:77], v[76:77], s[16:17], v[84:85]
	v_add_f64 v[56:57], v[78:79], v[56:57]
	v_add_f64 v[80:81], v[82:83], v[108:109]
	v_fma_f64 v[108:109], v[72:73], s[22:23], v[162:163]
	v_add_f64 v[106:107], v[142:143], v[106:107]
	v_add_f64 v[86:87], v[90:91], v[88:89]
	v_fma_f64 v[88:89], v[72:73], s[6:7], v[146:147]
	v_add_f64 v[90:91], v[122:123], v[120:121]
	v_fma_f64 v[126:127], v[72:73], s[24:25], v[172:173]
	v_fma_f64 v[82:83], v[72:73], s[10:11], v[198:199]
	;; [unrolled: 1-line block ×3, first 2 shown]
	v_add_f64 v[56:57], v[76:77], v[56:57]
	v_fma_f64 v[76:77], v[68:69], s[4:5], v[148:149]
	v_fma_f64 v[84:85], v[68:69], s[16:17], v[170:171]
	v_add_f64 v[86:87], v[88:89], v[86:87]
	v_add_f64 v[88:89], v[108:109], v[90:91]
	v_fma_f64 v[90:91], v[68:69], s[18:19], v[168:169]
	v_add_f64 v[78:79], v[126:127], v[106:107]
	v_add_f64 v[80:81], v[82:83], v[80:81]
	v_fma_f64 v[82:83], v[68:69], s[22:23], v[204:205]
	v_fma_f64 v[68:69], v[68:69], s[20:21], v[124:125]
	v_add_f64 v[56:57], v[72:73], v[56:57]
	v_mul_f64 v[114:115], v[114:115], s[26:27]
	v_add_f64 v[72:73], v[76:77], v[86:87]
	v_add_f64 v[76:77], v[90:91], v[88:89]
	v_fma_f64 v[86:87], v[70:71], s[16:17], v[152:153]
	v_fma_f64 v[88:89], v[70:71], s[10:11], v[174:175]
	;; [unrolled: 1-line block ×4, first 2 shown]
	v_add_f64 v[78:79], v[84:85], v[78:79]
	v_fma_f64 v[84:85], v[70:71], s[4:5], v[186:187]
	v_add_f64 v[80:81], v[82:83], v[80:81]
	v_fma_f64 v[82:83], v[70:71], s[20:21], v[210:211]
	v_fma_f64 v[70:71], v[70:71], s[22:23], v[130:131]
	v_add_f64 v[56:57], v[68:69], v[56:57]
	v_fma_f64 v[190:191], v[74:75], s[16:17], v[114:115]
	v_add_f64 v[68:69], v[86:87], v[72:73]
	v_add_f64 v[72:73], v[88:89], v[76:77]
	v_fma_f64 v[76:77], v[74:75], s[16:17], -v[114:115]
	v_add_f64 v[90:91], v[154:155], v[118:119]
	v_add_f64 v[92:93], v[158:159], v[102:103]
	;; [unrolled: 1-line block ×4, first 2 shown]
	v_fma_f64 v[82:83], v[74:75], s[18:19], v[232:233]
	v_fma_f64 v[84:85], v[74:75], s[10:11], v[208:209]
	v_fma_f64 v[86:87], v[74:75], s[20:21], v[192:193]
	v_fma_f64 v[88:89], v[74:75], s[6:7], v[218:219]
	v_fma_f64 v[102:103], v[74:75], s[22:23], v[164:165]
	v_fma_f64 v[106:107], v[74:75], s[4:5], v[184:185]
	v_fma_f64 v[74:75], v[74:75], s[24:25], v[136:137]
	v_add_f64 v[56:57], v[70:71], v[56:57]
	v_add_f64 v[110:111], v[190:191], v[110:111]
	;; [unrolled: 1-line block ×10, first 2 shown]
	ds_write2_b64 v94, v[116:117], v[128:129] offset0:2 offset1:3
	ds_write2_b64 v94, v[176:177], v[156:157] offset0:4 offset1:5
	;; [unrolled: 1-line block ×7, first 2 shown]
	ds_write_b64 v94, v[56:57] offset:128
.LBB0_12:
	s_or_b64 exec, exec, s[2:3]
	v_lshlrev_b32_e32 v68, 3, v98
	v_add_u32_e32 v108, 0, v68
	v_add_u32_e32 v101, v108, v99
	v_add3_u32 v100, 0, v99, v68
	v_add_u32_e32 v102, 0x800, v101
	v_add_u32_e32 v103, 0x1400, v101
	;; [unrolled: 1-line block ×6, first 2 shown]
	s_waitcnt vmcnt(0) lgkmcnt(0)
	s_barrier
	ds_read_b64 v[56:57], v100
	ds_read2_b64 v[92:95], v102 offset0:169 offset1:254
	ds_read2_b64 v[76:79], v103 offset0:125 offset1:210
	;; [unrolled: 1-line block ×7, first 2 shown]
	s_waitcnt lgkmcnt(0)
	s_barrier
	s_and_saveexec_b64 s[2:3], s[0:1]
	s_cbranch_execz .LBB0_14
; %bb.13:
	v_add_f64 v[109:110], v[66:67], v[58:59]
	v_add_f64 v[48:49], v[64:65], -v[48:49]
	v_add_f64 v[52:53], v[60:61], -v[52:53]
	s_mov_b32 s24, 0x5d8e7cdc
	s_mov_b32 s40, 0x2a9d6da3
	;; [unrolled: 1-line block ×5, first 2 shown]
	v_add_f64 v[64:65], v[62:63], v[109:110]
	s_mov_b32 s22, 0x6c9a05f6
	s_mov_b32 s28, 0x4363dd80
	;; [unrolled: 1-line block ×7, first 2 shown]
	v_add_f64 v[64:65], v[46:47], v[64:65]
	s_mov_b32 s19, 0xbfeec746
	s_mov_b32 s23, 0xbfe9895b
	;; [unrolled: 1-line block ×4, first 2 shown]
	v_add_f64 v[66:67], v[50:51], v[66:67]
	v_mul_f64 v[109:110], v[48:49], s[40:41]
	v_mul_f64 v[111:112], v[48:49], s[42:43]
	v_add_f64 v[64:65], v[38:39], v[64:65]
	v_mul_f64 v[113:114], v[48:49], s[36:37]
	v_mul_f64 v[115:116], v[48:49], s[18:19]
	;; [unrolled: 1-line block ×4, first 2 shown]
	s_mov_b32 s16, 0x370991
	s_mov_b32 s6, 0x75d4884
	;; [unrolled: 1-line block ×3, first 2 shown]
	v_add_f64 v[64:65], v[30:31], v[64:65]
	s_mov_b32 s4, 0x3259b75e
	s_mov_b32 s10, 0xc61f0d01
	;; [unrolled: 1-line block ×7, first 2 shown]
	v_add_f64 v[64:65], v[22:23], v[64:65]
	s_mov_b32 s1, 0x3fdc86fa
	s_mov_b32 s5, 0x3fb79ee6
	;; [unrolled: 1-line block ×6, first 2 shown]
	v_add_f64 v[62:63], v[54:55], v[62:63]
	v_add_f64 v[60:61], v[14:15], v[64:65]
	v_mul_f64 v[64:65], v[48:49], s[24:25]
	v_mul_f64 v[48:49], v[48:49], s[38:39]
	;; [unrolled: 1-line block ×6, first 2 shown]
	v_fma_f64 v[137:138], v[66:67], s[6:7], v[109:110]
	v_add_f64 v[60:61], v[6:7], v[60:61]
	v_fma_f64 v[135:136], v[66:67], s[16:17], v[64:65]
	v_fma_f64 v[64:65], v[66:67], s[16:17], -v[64:65]
	v_fma_f64 v[109:110], v[66:67], s[6:7], -v[109:110]
	v_fma_f64 v[139:140], v[66:67], s[0:1], v[111:112]
	v_fma_f64 v[111:112], v[66:67], s[0:1], -v[111:112]
	v_fma_f64 v[141:142], v[66:67], s[4:5], v[113:114]
	v_fma_f64 v[113:114], v[66:67], s[4:5], -v[113:114]
	v_add_f64 v[60:61], v[2:3], v[60:61]
	v_fma_f64 v[143:144], v[66:67], s[10:11], v[115:116]
	v_fma_f64 v[115:116], v[66:67], s[10:11], -v[115:116]
	v_fma_f64 v[145:146], v[66:67], s[20:21], v[117:118]
	v_fma_f64 v[117:118], v[66:67], s[20:21], -v[117:118]
	;; [unrolled: 2-line block ×3, first 2 shown]
	v_fma_f64 v[149:150], v[66:67], s[30:31], v[48:49]
	v_add_f64 v[60:61], v[10:11], v[60:61]
	v_fma_f64 v[48:49], v[66:67], s[30:31], -v[48:49]
	s_mov_b32 s51, 0x3fe0d888
	s_mov_b32 s49, 0x3feec746
	;; [unrolled: 1-line block ×6, first 2 shown]
	v_add_f64 v[60:61], v[18:19], v[60:61]
	v_mul_f64 v[129:130], v[52:53], s[50:51]
	v_mul_f64 v[131:132], v[52:53], s[48:49]
	;; [unrolled: 1-line block ×3, first 2 shown]
	v_fma_f64 v[66:67], v[62:63], s[6:7], v[121:122]
	v_fma_f64 v[151:152], v[62:63], s[4:5], v[123:124]
	v_fma_f64 v[123:124], v[62:63], s[4:5], -v[123:124]
	v_fma_f64 v[153:154], v[62:63], s[20:21], v[125:126]
	v_add_f64 v[60:61], v[26:27], v[60:61]
	v_fma_f64 v[125:126], v[62:63], s[20:21], -v[125:126]
	v_fma_f64 v[155:156], v[62:63], s[30:31], v[127:128]
	v_fma_f64 v[127:128], v[62:63], s[30:31], -v[127:128]
	v_add_f64 v[135:136], v[58:59], v[135:136]
	v_add_f64 v[64:65], v[58:59], v[64:65]
	;; [unrolled: 1-line block ×18, first 2 shown]
	v_add_f64 v[40:41], v[44:45], -v[40:41]
	s_mov_b32 s45, 0x3fd71e95
	v_add_f64 v[48:49], v[54:55], v[60:61]
	s_mov_b32 s44, s24
	v_add_f64 v[54:55], v[66:67], v[135:136]
	v_add_f64 v[66:67], v[123:124], v[109:110]
	;; [unrolled: 1-line block ×3, first 2 shown]
	v_fma_f64 v[123:124], v[62:63], s[26:27], -v[129:130]
	v_fma_f64 v[125:126], v[62:63], s[10:11], -v[131:132]
	v_mul_f64 v[52:53], v[52:53], s[44:45]
	v_add_f64 v[48:49], v[50:51], v[48:49]
	v_add_f64 v[50:51], v[127:128], v[113:114]
	v_fma_f64 v[127:128], v[62:63], s[0:1], v[133:134]
	v_add_f64 v[42:43], v[42:43], v[46:47]
	v_mul_f64 v[46:47], v[40:41], s[42:43]
	v_fma_f64 v[121:122], v[62:63], s[6:7], -v[121:122]
	v_fma_f64 v[157:158], v[62:63], s[26:27], v[129:130]
	v_fma_f64 v[44:45], v[62:63], s[10:11], v[131:132]
	v_fma_f64 v[129:130], v[62:63], s[0:1], -v[133:134]
	v_add_f64 v[115:116], v[123:124], v[115:116]
	v_add_f64 v[117:118], v[125:126], v[117:118]
	;; [unrolled: 1-line block ×3, first 2 shown]
	v_fma_f64 v[125:126], v[62:63], s[16:17], v[52:53]
	v_fma_f64 v[52:53], v[62:63], s[16:17], -v[52:53]
	v_fma_f64 v[62:63], v[42:43], s[0:1], v[46:47]
	v_mul_f64 v[127:128], v[40:41], s[22:23]
	s_mov_b32 s47, 0x3fc7851a
	s_mov_b32 s46, s38
	v_add_f64 v[60:61], v[121:122], v[64:65]
	v_add_f64 v[64:65], v[151:152], v[137:138]
	;; [unrolled: 1-line block ×3, first 2 shown]
	v_mul_f64 v[129:130], v[40:41], s[46:47]
	v_add_f64 v[52:53], v[52:53], v[58:59]
	v_add_f64 v[54:55], v[62:63], v[54:55]
	v_fma_f64 v[46:47], v[42:43], s[0:1], -v[46:47]
	v_fma_f64 v[58:59], v[42:43], s[20:21], v[127:128]
	v_mul_f64 v[62:63], v[40:41], s[48:49]
	v_fma_f64 v[127:128], v[42:43], s[20:21], -v[127:128]
	s_mov_b32 s47, 0x3fe58eea
	s_mov_b32 s46, s40
	v_add_f64 v[109:110], v[153:154], v[139:140]
	v_add_f64 v[121:122], v[155:156], v[141:142]
	v_fma_f64 v[131:132], v[42:43], s[30:31], v[129:130]
	v_mul_f64 v[133:134], v[40:41], s[46:47]
	v_add_f64 v[46:47], v[46:47], v[60:61]
	v_fma_f64 v[60:61], v[42:43], s[30:31], -v[129:130]
	v_fma_f64 v[129:130], v[42:43], s[10:11], v[62:63]
	v_add_f64 v[58:59], v[58:59], v[64:65]
	v_add_f64 v[64:65], v[127:128], v[66:67]
	v_fma_f64 v[62:63], v[42:43], s[10:11], -v[62:63]
	v_mul_f64 v[127:128], v[40:41], s[24:25]
	v_add_f64 v[113:114], v[157:158], v[143:144]
	v_add_f64 v[44:45], v[44:45], v[145:146]
	;; [unrolled: 1-line block ×3, first 2 shown]
	v_fma_f64 v[109:110], v[42:43], s[6:7], v[133:134]
	v_add_f64 v[60:61], v[60:61], v[111:112]
	v_add_f64 v[111:112], v[129:130], v[121:122]
	v_mul_f64 v[121:122], v[40:41], s[36:37]
	v_add_f64 v[50:51], v[62:63], v[50:51]
	v_add_f64 v[32:33], v[36:37], -v[32:33]
	v_fma_f64 v[62:63], v[42:43], s[16:17], v[127:128]
	v_mul_f64 v[40:41], v[40:41], s[28:29]
	v_fma_f64 v[129:130], v[42:43], s[6:7], -v[133:134]
	v_add_f64 v[36:37], v[109:110], v[113:114]
	v_fma_f64 v[109:110], v[42:43], s[16:17], -v[127:128]
	v_fma_f64 v[113:114], v[42:43], s[4:5], v[121:122]
	v_add_f64 v[34:35], v[34:35], v[38:39]
	v_mul_f64 v[38:39], v[32:33], s[36:37]
	v_fma_f64 v[121:122], v[42:43], s[4:5], -v[121:122]
	v_add_f64 v[44:45], v[62:63], v[44:45]
	v_fma_f64 v[62:63], v[42:43], s[26:27], v[40:41]
	v_fma_f64 v[40:41], v[42:43], s[26:27], -v[40:41]
	v_mul_f64 v[42:43], v[32:33], s[38:39]
	v_add_f64 v[125:126], v[125:126], v[149:150]
	v_add_f64 v[109:110], v[109:110], v[117:118]
	;; [unrolled: 1-line block ×3, first 2 shown]
	v_fma_f64 v[117:118], v[34:35], s[4:5], v[38:39]
	v_add_f64 v[119:120], v[121:122], v[119:120]
	v_mul_f64 v[121:122], v[32:33], s[48:49]
	v_fma_f64 v[38:39], v[34:35], s[4:5], -v[38:39]
	v_mul_f64 v[123:124], v[32:33], s[44:45]
	v_add_f64 v[40:41], v[40:41], v[52:53]
	v_fma_f64 v[52:53], v[34:35], s[30:31], v[42:43]
	v_add_f64 v[62:63], v[62:63], v[125:126]
	v_add_f64 v[54:55], v[117:118], v[54:55]
	v_fma_f64 v[42:43], v[34:35], s[30:31], -v[42:43]
	v_fma_f64 v[117:118], v[34:35], s[10:11], v[121:122]
	v_fma_f64 v[121:122], v[34:35], s[10:11], -v[121:122]
	v_add_f64 v[38:39], v[38:39], v[46:47]
	v_fma_f64 v[46:47], v[34:35], s[16:17], v[123:124]
	v_mul_f64 v[125:126], v[32:33], s[42:43]
	v_add_f64 v[52:53], v[52:53], v[58:59]
	v_mul_f64 v[58:59], v[32:33], s[28:29]
	s_mov_b32 s53, 0x3fe9895b
	s_mov_b32 s52, s22
	v_add_f64 v[115:116], v[129:130], v[115:116]
	v_add_f64 v[42:43], v[42:43], v[64:65]
	;; [unrolled: 1-line block ×4, first 2 shown]
	v_fma_f64 v[66:67], v[34:35], s[16:17], -v[123:124]
	v_add_f64 v[46:47], v[46:47], v[111:112]
	v_fma_f64 v[111:112], v[34:35], s[0:1], v[125:126]
	v_fma_f64 v[117:118], v[34:35], s[0:1], -v[125:126]
	v_fma_f64 v[121:122], v[34:35], s[26:27], v[58:59]
	v_mul_f64 v[123:124], v[32:33], s[52:53]
	v_mul_f64 v[32:33], v[32:33], s[46:47]
	v_add_f64 v[24:25], v[28:29], -v[24:25]
	v_fma_f64 v[58:59], v[34:35], s[26:27], -v[58:59]
	v_add_f64 v[50:51], v[66:67], v[50:51]
	v_add_f64 v[36:37], v[111:112], v[36:37]
	;; [unrolled: 1-line block ×4, first 2 shown]
	v_fma_f64 v[66:67], v[34:35], s[20:21], v[123:124]
	v_fma_f64 v[111:112], v[34:35], s[20:21], -v[123:124]
	v_fma_f64 v[115:116], v[34:35], s[6:7], v[32:33]
	v_mul_f64 v[30:31], v[24:25], s[18:19]
	v_fma_f64 v[32:33], v[34:35], s[6:7], -v[32:33]
	v_add_f64 v[34:35], v[58:59], v[109:110]
	v_mul_f64 v[58:59], v[24:25], s[50:51]
	v_mul_f64 v[109:110], v[24:25], s[46:47]
	v_add_f64 v[66:67], v[66:67], v[113:114]
	v_mul_f64 v[117:118], v[24:25], s[42:43]
	v_add_f64 v[62:63], v[115:116], v[62:63]
	v_fma_f64 v[113:114], v[26:27], s[10:11], v[30:31]
	v_add_f64 v[32:33], v[32:33], v[40:41]
	v_fma_f64 v[30:31], v[26:27], s[10:11], -v[30:31]
	v_fma_f64 v[40:41], v[26:27], s[26:27], v[58:59]
	v_fma_f64 v[58:59], v[26:27], s[26:27], -v[58:59]
	v_fma_f64 v[115:116], v[26:27], s[6:7], v[109:110]
	v_fma_f64 v[109:110], v[26:27], s[6:7], -v[109:110]
	s_mov_b32 s43, 0x3fefdd0d
	v_add_f64 v[54:55], v[113:114], v[54:55]
	v_mul_f64 v[113:114], v[24:25], s[38:39]
	v_add_f64 v[30:31], v[30:31], v[38:39]
	v_add_f64 v[38:39], v[40:41], v[52:53]
	v_fma_f64 v[52:53], v[26:27], s[0:1], v[117:118]
	s_mov_b32 s42, s36
	v_add_f64 v[40:41], v[58:59], v[42:43]
	v_add_f64 v[42:43], v[115:116], v[64:65]
	;; [unrolled: 1-line block ×3, first 2 shown]
	v_fma_f64 v[60:61], v[26:27], s[0:1], -v[117:118]
	v_fma_f64 v[64:65], v[26:27], s[30:31], v[113:114]
	v_mul_f64 v[109:110], v[24:25], s[42:43]
	v_add_f64 v[46:47], v[52:53], v[46:47]
	v_mul_f64 v[52:53], v[24:25], s[24:25]
	v_add_f64 v[16:17], v[20:21], -v[16:17]
	v_mul_f64 v[20:21], v[24:25], s[22:23]
	v_add_f64 v[44:45], v[121:122], v[44:45]
	v_add_f64 v[50:51], v[60:61], v[50:51]
	;; [unrolled: 1-line block ×3, first 2 shown]
	v_fma_f64 v[24:25], v[26:27], s[4:5], v[109:110]
	v_fma_f64 v[60:61], v[26:27], s[4:5], -v[109:110]
	v_fma_f64 v[64:65], v[26:27], s[16:17], v[52:53]
	v_add_f64 v[18:19], v[18:19], v[22:23]
	v_mul_f64 v[22:23], v[16:17], s[22:23]
	v_fma_f64 v[109:110], v[26:27], s[20:21], v[20:21]
	v_fma_f64 v[20:21], v[26:27], s[20:21], -v[20:21]
	v_fma_f64 v[113:114], v[26:27], s[30:31], -v[113:114]
	v_fma_f64 v[52:53], v[26:27], s[16:17], -v[52:53]
	v_add_f64 v[24:25], v[24:25], v[44:45]
	v_add_f64 v[26:27], v[60:61], v[34:35]
	;; [unrolled: 1-line block ×3, first 2 shown]
	v_mul_f64 v[44:45], v[16:17], s[48:49]
	v_fma_f64 v[60:61], v[18:19], s[20:21], v[22:23]
	v_mul_f64 v[64:65], v[16:17], s[24:25]
	v_add_f64 v[20:21], v[20:21], v[32:33]
	v_fma_f64 v[22:23], v[18:19], s[20:21], -v[22:23]
	v_mul_f64 v[32:33], v[16:17], s[28:29]
	v_add_f64 v[62:63], v[109:110], v[62:63]
	v_add_f64 v[8:9], v[12:13], -v[8:9]
	v_fma_f64 v[66:67], v[18:19], s[10:11], v[44:45]
	v_fma_f64 v[44:45], v[18:19], s[10:11], -v[44:45]
	v_add_f64 v[54:55], v[60:61], v[54:55]
	v_mul_f64 v[60:61], v[16:17], s[42:43]
	v_fma_f64 v[109:110], v[18:19], s[16:17], v[64:65]
	v_fma_f64 v[64:65], v[18:19], s[16:17], -v[64:65]
	v_add_f64 v[22:23], v[22:23], v[30:31]
	v_fma_f64 v[30:31], v[18:19], s[26:27], v[32:33]
	v_add_f64 v[111:112], v[111:112], v[119:120]
	v_add_f64 v[40:41], v[44:45], v[40:41]
	;; [unrolled: 1-line block ×3, first 2 shown]
	v_fma_f64 v[44:45], v[18:19], s[4:5], v[60:61]
	v_fma_f64 v[32:33], v[18:19], s[26:27], -v[32:33]
	v_add_f64 v[58:59], v[64:65], v[58:59]
	v_mul_f64 v[64:65], v[16:17], s[40:41]
	v_add_f64 v[30:31], v[30:31], v[46:47]
	v_fma_f64 v[46:47], v[18:19], s[4:5], -v[60:61]
	v_mul_f64 v[60:61], v[16:17], s[38:39]
	v_mul_f64 v[12:13], v[16:17], s[34:35]
	v_add_f64 v[36:37], v[44:45], v[36:37]
	v_add_f64 v[10:11], v[10:11], v[14:15]
	v_mul_f64 v[14:15], v[8:9], s[28:29]
	v_fma_f64 v[16:17], v[18:19], s[6:7], v[64:65]
	v_fma_f64 v[44:45], v[18:19], s[6:7], -v[64:65]
	v_add_f64 v[52:53], v[52:53], v[111:112]
	v_add_f64 v[32:33], v[32:33], v[50:51]
	;; [unrolled: 1-line block ×3, first 2 shown]
	v_fma_f64 v[46:47], v[18:19], s[30:31], v[60:61]
	v_fma_f64 v[50:51], v[18:19], s[30:31], -v[60:61]
	v_fma_f64 v[60:61], v[18:19], s[0:1], v[12:13]
	v_fma_f64 v[12:13], v[18:19], s[0:1], -v[12:13]
	v_add_f64 v[16:17], v[16:17], v[24:25]
	v_add_f64 v[24:25], v[44:45], v[26:27]
	v_mul_f64 v[26:27], v[8:9], s[34:35]
	v_fma_f64 v[44:45], v[10:11], s[26:27], v[14:15]
	v_add_f64 v[18:19], v[46:47], v[34:35]
	v_add_f64 v[34:35], v[50:51], v[52:53]
	v_mul_f64 v[50:51], v[8:9], s[36:37]
	v_fma_f64 v[14:15], v[10:11], s[26:27], -v[14:15]
	v_add_f64 v[12:13], v[12:13], v[20:21]
	v_mul_f64 v[20:21], v[8:9], s[52:53]
	v_add_f64 v[38:39], v[66:67], v[38:39]
	v_fma_f64 v[52:53], v[10:11], s[0:1], v[26:27]
	v_fma_f64 v[26:27], v[10:11], s[0:1], -v[26:27]
	v_add_f64 v[44:45], v[44:45], v[54:55]
	v_mul_f64 v[54:55], v[8:9], s[24:25]
	v_add_f64 v[46:47], v[60:61], v[62:63]
	v_fma_f64 v[60:61], v[10:11], s[4:5], v[50:51]
	v_add_f64 v[14:15], v[14:15], v[22:23]
	v_fma_f64 v[22:23], v[10:11], s[4:5], -v[50:51]
	v_fma_f64 v[50:51], v[10:11], s[20:21], v[20:21]
	v_add_f64 v[38:39], v[52:53], v[38:39]
	v_add_f64 v[26:27], v[26:27], v[40:41]
	v_fma_f64 v[20:21], v[10:11], s[20:21], -v[20:21]
	v_fma_f64 v[40:41], v[10:11], s[16:17], v[54:55]
	v_mul_f64 v[52:53], v[8:9], s[38:39]
	v_add_f64 v[0:1], v[4:5], -v[0:1]
	v_add_f64 v[2:3], v[2:3], v[6:7]
	v_add_f64 v[30:31], v[50:51], v[30:31]
	v_fma_f64 v[50:51], v[10:11], s[16:17], -v[54:55]
	v_mul_f64 v[54:55], v[8:9], s[46:47]
	v_add_f64 v[20:21], v[20:21], v[32:33]
	v_add_f64 v[32:33], v[40:41], v[36:37]
	v_fma_f64 v[4:5], v[10:11], s[30:31], v[52:53]
	v_fma_f64 v[36:37], v[10:11], s[30:31], -v[52:53]
	v_mul_f64 v[8:9], v[8:9], s[18:19]
	v_mul_f64 v[6:7], v[0:1], s[38:39]
	v_add_f64 v[28:29], v[50:51], v[28:29]
	v_fma_f64 v[40:41], v[10:11], s[6:7], v[54:55]
	v_fma_f64 v[50:51], v[10:11], s[6:7], -v[54:55]
	v_add_f64 v[42:43], v[109:110], v[42:43]
	v_add_f64 v[4:5], v[4:5], v[16:17]
	;; [unrolled: 1-line block ×3, first 2 shown]
	v_fma_f64 v[24:25], v[10:11], s[10:11], v[8:9]
	v_mul_f64 v[36:37], v[0:1], s[44:45]
	v_fma_f64 v[8:9], v[10:11], s[10:11], -v[8:9]
	v_add_f64 v[18:19], v[40:41], v[18:19]
	v_fma_f64 v[10:11], v[2:3], s[30:31], v[6:7]
	v_mul_f64 v[40:41], v[0:1], s[28:29]
	v_fma_f64 v[6:7], v[2:3], s[30:31], -v[6:7]
	v_add_f64 v[34:35], v[50:51], v[34:35]
	v_add_f64 v[24:25], v[24:25], v[46:47]
	v_fma_f64 v[46:47], v[2:3], s[16:17], v[36:37]
	v_fma_f64 v[36:37], v[2:3], s[16:17], -v[36:37]
	v_mul_f64 v[50:51], v[0:1], s[46:47]
	v_add_f64 v[42:43], v[60:61], v[42:43]
	v_add_f64 v[22:23], v[22:23], v[58:59]
	;; [unrolled: 1-line block ×3, first 2 shown]
	v_fma_f64 v[12:13], v[2:3], s[26:27], v[40:41]
	v_add_f64 v[6:7], v[6:7], v[14:15]
	v_fma_f64 v[14:15], v[2:3], s[26:27], -v[40:41]
	v_add_f64 v[10:11], v[10:11], v[44:45]
	v_add_f64 v[26:27], v[36:37], v[26:27]
	v_fma_f64 v[36:37], v[2:3], s[6:7], v[50:51]
	v_mul_f64 v[44:45], v[0:1], s[22:23]
	v_fma_f64 v[40:41], v[2:3], s[6:7], -v[50:51]
	v_add_f64 v[12:13], v[12:13], v[42:43]
	v_mul_f64 v[42:43], v[0:1], s[34:35]
	v_add_f64 v[14:15], v[14:15], v[22:23]
	v_mul_f64 v[22:23], v[0:1], s[18:19]
	v_mul_f64 v[0:1], v[0:1], s[42:43]
	v_add_f64 v[30:31], v[36:37], v[30:31]
	v_fma_f64 v[36:37], v[2:3], s[20:21], v[44:45]
	v_add_f64 v[38:39], v[46:47], v[38:39]
	v_add_f64 v[20:21], v[40:41], v[20:21]
	v_fma_f64 v[40:41], v[2:3], s[20:21], -v[44:45]
	v_fma_f64 v[44:45], v[2:3], s[0:1], v[42:43]
	v_fma_f64 v[46:47], v[2:3], s[10:11], v[22:23]
	v_fma_f64 v[50:51], v[2:3], s[4:5], v[0:1]
	v_fma_f64 v[0:1], v[2:3], s[4:5], -v[0:1]
	v_fma_f64 v[42:43], v[2:3], s[0:1], -v[42:43]
	;; [unrolled: 1-line block ×3, first 2 shown]
	v_add_f64 v[22:23], v[36:37], v[32:33]
	v_add_f64 v[28:29], v[40:41], v[28:29]
	;; [unrolled: 1-line block ×8, first 2 shown]
	v_lshlrev_b32_e32 v8, 7, v98
	v_add3_u32 v8, v108, v8, v99
	ds_write2_b64 v8, v[48:49], v[10:11] offset1:1
	ds_write2_b64 v8, v[38:39], v[12:13] offset0:2 offset1:3
	ds_write2_b64 v8, v[30:31], v[22:23] offset0:4 offset1:5
	;; [unrolled: 1-line block ×7, first 2 shown]
	ds_write_b64 v8, v[6:7] offset:128
.LBB0_14:
	s_or_b64 exec, exec, s[2:3]
	s_movk_i32 s0, 0xf1
	v_mul_lo_u16_sdwa v0, v98, s0 dst_sel:DWORD dst_unused:UNUSED_PAD src0_sel:BYTE_0 src1_sel:DWORD
	v_lshrrev_b16_e32 v136, 12, v0
	v_mul_lo_u16_e32 v0, 17, v136
	v_sub_u16_e32 v137, v98, v0
	v_mov_b32_e32 v16, 5
	v_add_u32_e32 v33, 0x55, v98
	v_lshlrev_b32_sdwa v8, v16, v137 dst_sel:DWORD dst_unused:UNUSED_PAD src0_sel:DWORD src1_sel:BYTE_0
	s_waitcnt lgkmcnt(0)
	s_barrier
	global_load_dwordx4 v[0:3], v8, s[8:9] offset:16
	global_load_dwordx4 v[4:7], v8, s[8:9]
	v_mul_lo_u16_sdwa v8, v33, s0 dst_sel:DWORD dst_unused:UNUSED_PAD src0_sel:BYTE_0 src1_sel:DWORD
	v_lshrrev_b16_e32 v138, 12, v8
	v_mul_lo_u16_e32 v8, 17, v138
	v_sub_u16_e32 v139, v33, v8
	v_add_u32_e32 v32, 0xaa, v98
	v_lshlrev_b32_sdwa v17, v16, v139 dst_sel:DWORD dst_unused:UNUSED_PAD src0_sel:DWORD src1_sel:BYTE_0
	global_load_dwordx4 v[8:11], v17, s[8:9] offset:16
	global_load_dwordx4 v[12:15], v17, s[8:9]
	v_mul_lo_u16_sdwa v17, v32, s0 dst_sel:DWORD dst_unused:UNUSED_PAD src0_sel:BYTE_0 src1_sel:DWORD
	v_lshrrev_b16_e32 v140, 12, v17
	v_mul_lo_u16_e32 v17, 17, v140
	v_sub_u16_e32 v141, v32, v17
	v_add_u32_e32 v34, 0xff, v98
	v_lshlrev_b32_sdwa v24, v16, v141 dst_sel:DWORD dst_unused:UNUSED_PAD src0_sel:DWORD src1_sel:BYTE_0
	s_mov_b32 s0, 0xf0f1
	global_load_dwordx4 v[16:19], v24, s[8:9] offset:16
	global_load_dwordx4 v[20:23], v24, s[8:9]
	v_mul_u32_u24_sdwa v24, v34, s0 dst_sel:DWORD dst_unused:UNUSED_PAD src0_sel:WORD_0 src1_sel:DWORD
	v_lshrrev_b32_e32 v142, 20, v24
	v_mul_lo_u16_e32 v24, 17, v142
	v_sub_u16_e32 v143, v34, v24
	v_add_u32_e32 v35, 0x154, v98
	v_lshlrev_b32_e32 v36, 5, v143
	global_load_dwordx4 v[24:27], v36, s[8:9] offset:16
	global_load_dwordx4 v[28:31], v36, s[8:9]
	v_mul_u32_u24_sdwa v36, v35, s0 dst_sel:DWORD dst_unused:UNUSED_PAD src0_sel:WORD_0 src1_sel:DWORD
	v_lshrrev_b32_e32 v144, 20, v36
	v_mul_lo_u16_e32 v36, 17, v144
	v_sub_u16_e32 v145, v35, v36
	v_lshlrev_b32_e32 v43, 5, v145
	global_load_dwordx4 v[35:38], v43, s[8:9]
	global_load_dwordx4 v[39:42], v43, s[8:9] offset:16
	ds_read_b64 v[66:67], v100
	ds_read2_b64 v[43:46], v102 offset0:169 offset1:254
	ds_read2_b64 v[47:50], v103 offset0:125 offset1:210
	;; [unrolled: 1-line block ×7, first 2 shown]
	s_mov_b32 s0, 0xe8584caa
	s_mov_b32 s1, 0x3febb67a
	;; [unrolled: 1-line block ×4, first 2 shown]
	s_waitcnt vmcnt(0) lgkmcnt(0)
	s_barrier
	s_mov_b32 s7, 0xbfee6f0e
	s_mov_b32 s4, 0x4755a5e
	;; [unrolled: 1-line block ×7, first 2 shown]
	s_movk_i32 s18, 0x7f8
	v_mul_f64 v[118:119], v[49:50], v[2:3]
	v_mul_f64 v[116:117], v[43:44], v[6:7]
	;; [unrolled: 1-line block ×8, first 2 shown]
	v_fma_f64 v[92:93], v[92:93], v[4:5], -v[116:117]
	v_fma_f64 v[4:5], v[43:44], v[4:5], v[6:7]
	v_fma_f64 v[6:7], v[78:79], v[0:1], -v[118:119]
	v_fma_f64 v[0:1], v[49:50], v[0:1], v[2:3]
	v_mul_f64 v[126:127], v[60:61], v[18:19]
	v_mul_f64 v[124:125], v[62:63], v[22:23]
	;; [unrolled: 1-line block ×4, first 2 shown]
	v_fma_f64 v[2:3], v[94:95], v[12:13], -v[120:121]
	v_fma_f64 v[12:13], v[45:46], v[12:13], v[14:15]
	v_fma_f64 v[14:15], v[88:89], v[8:9], -v[122:123]
	v_mul_f64 v[130:131], v[112:113], v[26:27]
	v_mul_f64 v[128:129], v[64:65], v[30:31]
	;; [unrolled: 1-line block ×4, first 2 shown]
	v_fma_f64 v[8:9], v[58:59], v[8:9], v[10:11]
	v_fma_f64 v[10:11], v[84:85], v[20:21], -v[124:125]
	v_mul_f64 v[132:133], v[47:48], v[37:38]
	v_mul_f64 v[37:38], v[76:77], v[37:38]
	;; [unrolled: 1-line block ×4, first 2 shown]
	v_fma_f64 v[20:21], v[62:63], v[20:21], v[22:23]
	v_fma_f64 v[22:23], v[90:91], v[16:17], -v[126:127]
	v_fma_f64 v[16:17], v[60:61], v[16:17], v[18:19]
	v_fma_f64 v[18:19], v[86:87], v[28:29], -v[128:129]
	;; [unrolled: 2-line block ×5, first 2 shown]
	v_fma_f64 v[39:40], v[114:115], v[39:40], v[41:42]
	v_add_f64 v[41:42], v[56:57], v[92:93]
	v_add_f64 v[43:44], v[92:93], v[6:7]
	v_add_f64 v[45:46], v[4:5], -v[0:1]
	v_add_f64 v[47:48], v[66:67], v[4:5]
	v_add_f64 v[4:5], v[4:5], v[0:1]
	;; [unrolled: 1-line block ×3, first 2 shown]
	v_add_f64 v[49:50], v[92:93], -v[6:7]
	v_add_f64 v[58:59], v[72:73], v[2:3]
	v_add_f64 v[62:63], v[12:13], -v[8:9]
	v_add_f64 v[64:65], v[51:52], v[12:13]
	v_fma_f64 v[43:44], v[43:44], -0.5, v[56:57]
	v_add_f64 v[12:13], v[12:13], v[8:9]
	v_fma_f64 v[4:5], v[4:5], -0.5, v[66:67]
	v_add_f64 v[6:7], v[41:42], v[6:7]
	v_add_f64 v[41:42], v[47:48], v[0:1]
	v_fma_f64 v[0:1], v[60:61], -0.5, v[72:73]
	v_add_f64 v[55:56], v[10:11], v[22:23]
	v_add_f64 v[47:48], v[58:59], v[14:15]
	v_fma_f64 v[57:58], v[45:46], s[0:1], v[43:44]
	v_fma_f64 v[43:44], v[45:46], s[2:3], v[43:44]
	;; [unrolled: 1-line block ×4, first 2 shown]
	v_fma_f64 v[4:5], v[12:13], -0.5, v[51:52]
	v_add_f64 v[2:3], v[2:3], -v[14:15]
	v_fma_f64 v[12:13], v[62:63], s[0:1], v[0:1]
	v_fma_f64 v[0:1], v[62:63], s[2:3], v[0:1]
	v_add_f64 v[51:52], v[64:65], v[8:9]
	v_add_f64 v[8:9], v[20:21], v[16:17]
	;; [unrolled: 1-line block ×4, first 2 shown]
	v_fma_f64 v[55:56], v[55:56], -0.5, v[74:75]
	v_add_f64 v[59:60], v[20:21], -v[16:17]
	v_fma_f64 v[61:62], v[2:3], s[2:3], v[4:5]
	v_fma_f64 v[65:66], v[2:3], s[0:1], v[4:5]
	v_add_f64 v[2:3], v[53:54], v[20:21]
	v_fma_f64 v[4:5], v[8:9], -0.5, v[53:54]
	v_add_f64 v[8:9], v[10:11], -v[22:23]
	v_add_f64 v[10:11], v[14:15], v[22:23]
	v_add_f64 v[20:21], v[68:69], v[18:19]
	v_fma_f64 v[22:23], v[63:64], -0.5, v[68:69]
	v_add_f64 v[53:54], v[28:29], -v[24:25]
	v_fma_f64 v[14:15], v[59:60], s[0:1], v[55:56]
	v_fma_f64 v[55:56], v[59:60], s[2:3], v[55:56]
	v_add_f64 v[59:60], v[2:3], v[16:17]
	v_fma_f64 v[63:64], v[8:9], s[2:3], v[4:5]
	v_add_f64 v[2:3], v[28:29], v[24:25]
	;; [unrolled: 2-line block ×3, first 2 shown]
	v_add_f64 v[4:5], v[26:27], v[37:38]
	v_fma_f64 v[16:17], v[53:54], s[0:1], v[22:23]
	v_fma_f64 v[20:21], v[53:54], s[2:3], v[22:23]
	v_add_f64 v[22:23], v[35:36], v[39:40]
	v_add_f64 v[28:29], v[108:109], v[28:29]
	v_fma_f64 v[2:3], v[2:3], -0.5, v[108:109]
	v_add_f64 v[18:19], v[18:19], -v[30:31]
	v_add_f64 v[30:31], v[70:71], v[26:27]
	v_fma_f64 v[4:5], v[4:5], -0.5, v[70:71]
	v_add_f64 v[53:54], v[35:36], -v[39:40]
	;; [unrolled: 3-line block ×3, first 2 shown]
	v_add_f64 v[28:29], v[28:29], v[24:25]
	v_fma_f64 v[69:70], v[18:19], s[2:3], v[2:3]
	v_fma_f64 v[71:72], v[18:19], s[0:1], v[2:3]
	v_add_f64 v[2:3], v[30:31], v[37:38]
	v_fma_f64 v[18:19], v[53:54], s[0:1], v[4:5]
	v_fma_f64 v[24:25], v[53:54], s[2:3], v[4:5]
	;; [unrolled: 3-line block ×3, first 2 shown]
	s_movk_i32 s0, 0x198
	v_mov_b32_e32 v4, 3
	v_mad_u32_u24 v5, v136, s0, 0
	v_lshlrev_b32_sdwa v22, v4, v137 dst_sel:DWORD dst_unused:UNUSED_PAD src0_sel:DWORD src1_sel:BYTE_0
	v_add3_u32 v5, v5, v22, v99
	ds_write2_b64 v5, v[6:7], v[57:58] offset1:17
	ds_write_b64 v5, v[43:44] offset:272
	v_mad_u32_u24 v6, v138, s0, 0
	v_lshlrev_b32_sdwa v7, v4, v139 dst_sel:DWORD dst_unused:UNUSED_PAD src0_sel:DWORD src1_sel:BYTE_0
	v_add3_u32 v43, v6, v7, v99
	ds_write2_b64 v43, v[47:48], v[12:13] offset1:17
	ds_write_b64 v43, v[0:1] offset:272
	v_mad_u32_u24 v0, v140, s0, 0
	v_lshlrev_b32_sdwa v1, v4, v141 dst_sel:DWORD dst_unused:UNUSED_PAD src0_sel:DWORD src1_sel:BYTE_0
	v_add3_u32 v44, v0, v1, v99
	v_mad_u32_u24 v0, v142, s0, 0
	v_lshlrev_b32_e32 v1, 3, v143
	v_add3_u32 v47, v0, v1, v99
	v_mad_u32_u24 v0, v144, s0, 0
	v_lshlrev_b32_e32 v1, 3, v145
	v_add3_u32 v48, v0, v1, v99
	ds_write2_b64 v44, v[10:11], v[14:15] offset1:17
	ds_write_b64 v44, v[55:56] offset:272
	ds_write2_b64 v47, v[8:9], v[16:17] offset1:17
	ds_write_b64 v47, v[20:21] offset:272
	;; [unrolled: 2-line block ×3, first 2 shown]
	s_waitcnt lgkmcnt(0)
	s_barrier
	ds_read_b64 v[128:129], v100
	ds_read2_b64 v[6:9], v107 offset0:127 offset1:212
	ds_read2_b64 v[10:13], v102 offset0:169 offset1:254
	;; [unrolled: 1-line block ×7, first 2 shown]
	s_waitcnt lgkmcnt(0)
	s_barrier
	ds_write2_b64 v5, v[41:42], v[45:46] offset1:17
	ds_write_b64 v5, v[49:50] offset:272
	ds_write2_b64 v43, v[51:52], v[61:62] offset1:17
	ds_write_b64 v43, v[65:66] offset:272
	;; [unrolled: 2-line block ×5, first 2 shown]
	v_subrev_u32_e32 v5, 51, v98
	v_cmp_gt_u32_e64 s[0:1], 51, v98
	v_cndmask_b32_e64 v5, v5, v98, s[0:1]
	v_lshlrev_b32_e32 v28, 2, v5
	v_mov_b32_e32 v29, 0
	v_lshlrev_b64 v[26:27], 4, v[28:29]
	v_mov_b32_e32 v28, s9
	v_add_co_u32_e64 v26, s[0:1], s8, v26
	v_addc_co_u32_e64 v27, s[0:1], v28, v27, s[0:1]
	s_waitcnt lgkmcnt(0)
	s_barrier
	global_load_dwordx4 v[39:42], v[26:27], off offset:544
	global_load_dwordx4 v[43:46], v[26:27], off offset:560
	;; [unrolled: 1-line block ×4, first 2 shown]
	s_movk_i32 s0, 0xa1
	v_mul_lo_u16_sdwa v26, v33, s0 dst_sel:DWORD dst_unused:UNUSED_PAD src0_sel:BYTE_0 src1_sel:DWORD
	v_lshrrev_b16_e32 v28, 13, v26
	v_mul_lo_u16_e32 v26, 51, v28
	v_sub_u16_e32 v95, v33, v26
	v_mov_b32_e32 v26, 6
	v_lshlrev_b32_sdwa v27, v26, v95 dst_sel:DWORD dst_unused:UNUSED_PAD src0_sel:DWORD src1_sel:BYTE_0
	global_load_dwordx4 v[55:58], v27, s[8:9] offset:544
	global_load_dwordx4 v[59:62], v27, s[8:9] offset:560
	;; [unrolled: 1-line block ×4, first 2 shown]
	v_mul_lo_u16_sdwa v27, v32, s0 dst_sel:DWORD dst_unused:UNUSED_PAD src0_sel:BYTE_0 src1_sel:DWORD
	v_lshrrev_b16_e32 v134, 13, v27
	v_mul_lo_u16_e32 v27, 51, v134
	v_sub_u16_e32 v135, v32, v27
	v_lshlrev_b32_sdwa v26, v26, v135 dst_sel:DWORD dst_unused:UNUSED_PAD src0_sel:DWORD src1_sel:BYTE_0
	global_load_dwordx4 v[71:74], v26, s[8:9] offset:544
	global_load_dwordx4 v[75:78], v26, s[8:9] offset:560
	;; [unrolled: 1-line block ×4, first 2 shown]
	ds_read_b64 v[26:27], v100
	ds_read2_b64 v[87:90], v107 offset0:127 offset1:212
	ds_read2_b64 v[91:94], v102 offset0:169 offset1:254
	;; [unrolled: 1-line block ×7, first 2 shown]
	s_mov_b32 s2, 0x134454ff
	s_mov_b32 s3, 0x3fee6f0e
	;; [unrolled: 1-line block ×3, first 2 shown]
	v_cmp_lt_u32_e64 s[0:1], 50, v98
	v_lshlrev_b32_e32 v5, 3, v5
	s_waitcnt vmcnt(0) lgkmcnt(0)
	s_barrier
	v_mul_f64 v[30:31], v[87:88], v[41:42]
	v_mul_f64 v[41:42], v[6:7], v[41:42]
	;; [unrolled: 1-line block ×6, first 2 shown]
	v_fma_f64 v[6:7], v[6:7], v[39:40], -v[30:31]
	v_mul_f64 v[30:31], v[114:115], v[53:54]
	v_mul_f64 v[53:54], v[20:21], v[53:54]
	v_fma_f64 v[39:40], v[87:88], v[39:40], v[41:42]
	v_fma_f64 v[41:42], v[93:94], v[43:44], v[45:46]
	v_mul_f64 v[45:46], v[89:90], v[57:58]
	v_fma_f64 v[12:13], v[12:13], v[43:44], -v[130:131]
	v_fma_f64 v[14:15], v[14:15], v[47:48], -v[132:133]
	v_fma_f64 v[43:44], v[108:109], v[47:48], v[49:50]
	v_fma_f64 v[20:21], v[20:21], v[51:52], -v[30:31]
	v_fma_f64 v[30:31], v[114:115], v[51:52], v[53:54]
	v_mul_f64 v[53:54], v[110:111], v[65:66]
	v_mul_f64 v[47:48], v[8:9], v[57:58]
	;; [unrolled: 1-line block ×5, first 2 shown]
	v_fma_f64 v[8:9], v[8:9], v[55:56], -v[45:46]
	v_mul_f64 v[45:46], v[124:125], v[69:70]
	v_mul_f64 v[61:62], v[35:36], v[69:70]
	v_fma_f64 v[16:17], v[16:17], v[63:64], -v[53:54]
	v_mul_f64 v[53:54], v[91:92], v[73:74]
	v_fma_f64 v[47:48], v[89:90], v[55:56], v[47:48]
	v_fma_f64 v[22:23], v[22:23], v[59:60], -v[49:50]
	v_fma_f64 v[49:50], v[120:121], v[59:60], v[51:52]
	v_fma_f64 v[51:52], v[110:111], v[63:64], v[57:58]
	v_fma_f64 v[35:36], v[35:36], v[67:68], -v[45:46]
	v_fma_f64 v[45:46], v[124:125], v[67:68], v[61:62]
	v_mul_f64 v[55:56], v[10:11], v[73:74]
	v_mul_f64 v[57:58], v[122:123], v[77:78]
	v_add_f64 v[59:60], v[128:129], v[6:7]
	v_mul_f64 v[61:62], v[24:25], v[77:78]
	v_fma_f64 v[10:11], v[10:11], v[71:72], -v[53:54]
	v_mul_f64 v[53:54], v[112:113], v[81:82]
	v_mul_f64 v[65:66], v[18:19], v[81:82]
	v_add_f64 v[63:64], v[12:13], v[14:15]
	v_mul_f64 v[67:68], v[37:38], v[85:86]
	v_fma_f64 v[24:25], v[24:25], v[75:76], -v[57:58]
	v_add_f64 v[57:58], v[59:60], v[12:13]
	v_fma_f64 v[59:60], v[122:123], v[75:76], v[61:62]
	v_add_f64 v[73:74], v[6:7], v[20:21]
	v_fma_f64 v[18:19], v[18:19], v[79:80], -v[53:54]
	v_fma_f64 v[53:54], v[112:113], v[79:80], v[65:66]
	v_mul_f64 v[65:66], v[126:127], v[85:86]
	v_add_f64 v[75:76], v[6:7], -v[12:13]
	v_add_f64 v[77:78], v[20:21], -v[14:15]
	v_fma_f64 v[55:56], v[91:92], v[71:72], v[55:56]
	v_fma_f64 v[61:62], v[63:64], -0.5, v[128:129]
	v_add_f64 v[63:64], v[39:40], -v[30:31]
	v_add_f64 v[71:72], v[41:42], -v[43:44]
	v_add_f64 v[57:58], v[57:58], v[14:15]
	v_fma_f64 v[37:38], v[37:38], v[83:84], -v[65:66]
	v_fma_f64 v[65:66], v[126:127], v[83:84], v[67:68]
	v_fma_f64 v[67:68], v[73:74], -0.5, v[128:129]
	v_add_f64 v[73:74], v[75:76], v[77:78]
	v_add_f64 v[75:76], v[26:27], v[39:40]
	;; [unrolled: 1-line block ×3, first 2 shown]
	v_fma_f64 v[69:70], v[63:64], s[2:3], v[61:62]
	v_fma_f64 v[61:62], v[63:64], s[6:7], v[61:62]
	v_add_f64 v[81:82], v[12:13], -v[6:7]
	v_add_f64 v[6:7], v[6:7], -v[20:21]
	v_fma_f64 v[79:80], v[71:72], s[6:7], v[67:68]
	v_fma_f64 v[67:68], v[71:72], s[2:3], v[67:68]
	v_add_f64 v[75:76], v[75:76], v[41:42]
	v_fma_f64 v[77:78], v[77:78], -0.5, v[26:27]
	v_add_f64 v[57:58], v[57:58], v[20:21]
	v_fma_f64 v[69:70], v[71:72], s[4:5], v[69:70]
	v_add_f64 v[83:84], v[14:15], -v[20:21]
	v_fma_f64 v[20:21], v[71:72], s[10:11], v[61:62]
	v_fma_f64 v[61:62], v[63:64], s[4:5], v[79:80]
	;; [unrolled: 1-line block ×3, first 2 shown]
	v_add_f64 v[67:68], v[75:76], v[43:44]
	v_fma_f64 v[75:76], v[6:7], s[6:7], v[77:78]
	v_add_f64 v[79:80], v[39:40], v[30:31]
	v_add_f64 v[12:13], v[12:13], -v[14:15]
	v_add_f64 v[71:72], v[81:82], v[83:84]
	v_fma_f64 v[14:15], v[73:74], s[16:17], v[69:70]
	v_fma_f64 v[20:21], v[73:74], s[16:17], v[20:21]
	v_add_f64 v[73:74], v[30:31], -v[43:44]
	v_add_f64 v[67:68], v[67:68], v[30:31]
	v_fma_f64 v[77:78], v[6:7], s[2:3], v[77:78]
	v_fma_f64 v[26:27], v[79:80], -0.5, v[26:27]
	v_fma_f64 v[69:70], v[12:13], s[10:11], v[75:76]
	v_add_f64 v[75:76], v[0:1], v[8:9]
	v_fma_f64 v[61:62], v[71:72], s[16:17], v[61:62]
	v_fma_f64 v[63:64], v[71:72], s[16:17], v[63:64]
	v_add_f64 v[71:72], v[39:40], -v[41:42]
	v_add_f64 v[79:80], v[22:23], v[16:17]
	v_add_f64 v[39:40], v[41:42], -v[39:40]
	v_fma_f64 v[81:82], v[12:13], s[2:3], v[26:27]
	v_add_f64 v[30:31], v[43:44], -v[30:31]
	v_fma_f64 v[26:27], v[12:13], s[6:7], v[26:27]
	v_add_f64 v[43:44], v[75:76], v[22:23]
	v_fma_f64 v[12:13], v[12:13], s[4:5], v[77:78]
	v_add_f64 v[41:42], v[71:72], v[73:74]
	v_fma_f64 v[71:72], v[79:80], -0.5, v[0:1]
	v_add_f64 v[73:74], v[47:48], -v[45:46]
	v_fma_f64 v[75:76], v[6:7], s[10:11], v[81:82]
	v_add_f64 v[30:31], v[39:40], v[30:31]
	v_fma_f64 v[6:7], v[6:7], s[4:5], v[26:27]
	v_add_f64 v[26:27], v[8:9], v[35:36]
	v_add_f64 v[39:40], v[43:44], v[16:17]
	v_fma_f64 v[43:44], v[41:42], s[16:17], v[69:70]
	v_fma_f64 v[41:42], v[41:42], s[16:17], v[12:13]
	;; [unrolled: 1-line block ×3, first 2 shown]
	v_add_f64 v[69:70], v[49:50], -v[51:52]
	v_fma_f64 v[75:76], v[30:31], s[16:17], v[75:76]
	v_fma_f64 v[77:78], v[30:31], s[16:17], v[6:7]
	v_fma_f64 v[0:1], v[26:27], -0.5, v[0:1]
	v_add_f64 v[6:7], v[39:40], v[35:36]
	v_add_f64 v[26:27], v[8:9], -v[22:23]
	v_add_f64 v[30:31], v[35:36], -v[16:17]
	v_fma_f64 v[39:40], v[73:74], s[6:7], v[71:72]
	v_add_f64 v[71:72], v[116:117], v[47:48]
	v_fma_f64 v[12:13], v[69:70], s[4:5], v[12:13]
	v_add_f64 v[79:80], v[49:50], v[51:52]
	v_fma_f64 v[81:82], v[69:70], s[6:7], v[0:1]
	v_add_f64 v[83:84], v[22:23], -v[8:9]
	v_add_f64 v[85:86], v[16:17], -v[35:36]
	v_add_f64 v[26:27], v[26:27], v[30:31]
	v_fma_f64 v[30:31], v[69:70], s[10:11], v[39:40]
	v_add_f64 v[39:40], v[71:72], v[49:50]
	v_fma_f64 v[0:1], v[69:70], s[2:3], v[0:1]
	v_fma_f64 v[69:70], v[79:80], -0.5, v[116:117]
	v_add_f64 v[8:9], v[8:9], -v[35:36]
	v_fma_f64 v[35:36], v[73:74], s[4:5], v[81:82]
	v_add_f64 v[71:72], v[83:84], v[85:86]
	v_fma_f64 v[12:13], v[26:27], s[16:17], v[12:13]
	v_fma_f64 v[26:27], v[26:27], s[16:17], v[30:31]
	v_add_f64 v[30:31], v[39:40], v[51:52]
	v_add_f64 v[39:40], v[47:48], v[45:46]
	v_fma_f64 v[0:1], v[73:74], s[10:11], v[0:1]
	v_fma_f64 v[73:74], v[8:9], s[6:7], v[69:70]
	v_add_f64 v[16:17], v[22:23], -v[16:17]
	v_fma_f64 v[22:23], v[71:72], s[16:17], v[35:36]
	v_add_f64 v[35:36], v[24:25], v[18:19]
	v_add_f64 v[79:80], v[47:48], -v[49:50]
	v_add_f64 v[81:82], v[45:46], -v[51:52]
	v_fma_f64 v[39:40], v[39:40], -0.5, v[116:117]
	v_fma_f64 v[0:1], v[71:72], s[16:17], v[0:1]
	v_add_f64 v[71:72], v[30:31], v[45:46]
	v_fma_f64 v[30:31], v[16:17], s[10:11], v[73:74]
	v_add_f64 v[73:74], v[2:3], v[10:11]
	v_fma_f64 v[35:36], v[35:36], -0.5, v[2:3]
	v_add_f64 v[83:84], v[55:56], -v[65:66]
	v_add_f64 v[79:80], v[79:80], v[81:82]
	v_fma_f64 v[69:70], v[8:9], s[2:3], v[69:70]
	v_fma_f64 v[81:82], v[16:17], s[2:3], v[39:40]
	v_add_f64 v[47:48], v[49:50], -v[47:48]
	v_add_f64 v[45:46], v[51:52], -v[45:46]
	v_fma_f64 v[39:40], v[16:17], s[6:7], v[39:40]
	v_add_f64 v[49:50], v[73:74], v[24:25]
	v_fma_f64 v[51:52], v[83:84], s[2:3], v[35:36]
	v_add_f64 v[73:74], v[59:60], -v[53:54]
	v_add_f64 v[85:86], v[10:11], -v[24:25]
	v_add_f64 v[87:88], v[37:38], -v[18:19]
	v_fma_f64 v[16:17], v[16:17], s[4:5], v[69:70]
	v_add_f64 v[69:70], v[10:11], v[37:38]
	v_fma_f64 v[81:82], v[8:9], s[10:11], v[81:82]
	v_add_f64 v[45:46], v[47:48], v[45:46]
	;; [unrolled: 2-line block ×4, first 2 shown]
	v_fma_f64 v[51:52], v[79:80], s[16:17], v[30:31]
	v_fma_f64 v[2:3], v[69:70], -0.5, v[2:3]
	v_fma_f64 v[69:70], v[79:80], s[16:17], v[16:17]
	v_fma_f64 v[79:80], v[45:46], s[16:17], v[81:82]
	v_add_f64 v[16:17], v[59:60], v[53:54]
	v_add_f64 v[81:82], v[55:56], v[65:66]
	v_fma_f64 v[45:46], v[45:46], s[16:17], v[8:9]
	v_add_f64 v[8:9], v[39:40], v[37:38]
	v_fma_f64 v[30:31], v[49:50], s[16:17], v[47:48]
	v_fma_f64 v[35:36], v[83:84], s[6:7], v[35:36]
	;; [unrolled: 1-line block ×3, first 2 shown]
	v_add_f64 v[47:48], v[24:25], -v[10:11]
	v_add_f64 v[85:86], v[18:19], -v[37:38]
	v_add_f64 v[87:88], v[118:119], v[55:56]
	v_fma_f64 v[16:17], v[16:17], -0.5, v[118:119]
	v_add_f64 v[10:11], v[10:11], -v[37:38]
	v_add_f64 v[18:19], v[24:25], -v[18:19]
	v_fma_f64 v[24:25], v[81:82], -0.5, v[118:119]
	v_fma_f64 v[35:36], v[73:74], s[10:11], v[35:36]
	v_fma_f64 v[37:38], v[83:84], s[4:5], v[39:40]
	v_add_f64 v[39:40], v[47:48], v[85:86]
	v_fma_f64 v[2:3], v[73:74], s[2:3], v[2:3]
	v_add_f64 v[47:48], v[87:88], v[59:60]
	v_fma_f64 v[73:74], v[10:11], s[6:7], v[16:17]
	v_add_f64 v[81:82], v[55:56], -v[59:60]
	v_add_f64 v[85:86], v[65:66], -v[53:54]
	v_fma_f64 v[16:17], v[10:11], s[2:3], v[16:17]
	v_fma_f64 v[87:88], v[18:19], s[2:3], v[24:25]
	v_add_f64 v[55:56], v[59:60], -v[55:56]
	v_add_f64 v[59:60], v[53:54], -v[65:66]
	v_fma_f64 v[24:25], v[18:19], s[6:7], v[24:25]
	v_fma_f64 v[2:3], v[83:84], s[10:11], v[2:3]
	v_add_f64 v[47:48], v[47:48], v[53:54]
	v_fma_f64 v[53:54], v[18:19], s[10:11], v[73:74]
	v_add_f64 v[73:74], v[81:82], v[85:86]
	v_fma_f64 v[16:17], v[18:19], s[4:5], v[16:17]
	v_fma_f64 v[18:19], v[10:11], s[10:11], v[87:88]
	v_add_f64 v[55:56], v[55:56], v[59:60]
	v_fma_f64 v[10:11], v[10:11], s[4:5], v[24:25]
	v_fma_f64 v[24:25], v[49:50], s[16:17], v[35:36]
	;; [unrolled: 1-line block ×5, first 2 shown]
	v_add_f64 v[37:38], v[47:48], v[65:66]
	v_fma_f64 v[47:48], v[73:74], s[16:17], v[16:17]
	v_fma_f64 v[49:50], v[55:56], s[16:17], v[18:19]
	;; [unrolled: 1-line block ×3, first 2 shown]
	v_mov_b32_e32 v10, 0x7f8
	v_cndmask_b32_e64 v10, 0, v10, s[0:1]
	v_add_u32_e32 v10, 0, v10
	v_add3_u32 v55, v10, v5, v99
	v_mad_u32_u24 v5, v28, s18, 0
	v_lshlrev_b32_sdwa v10, v4, v95 dst_sel:DWORD dst_unused:UNUSED_PAD src0_sel:DWORD src1_sel:BYTE_0
	v_add3_u32 v28, v5, v10, v99
	ds_write2_b64 v55, v[57:58], v[14:15] offset1:51
	ds_write2_b64 v55, v[61:62], v[63:64] offset0:102 offset1:153
	ds_write_b64 v55, v[20:21] offset:1632
	ds_write2_b64 v28, v[6:7], v[12:13] offset1:51
	ds_write2_b64 v28, v[22:23], v[0:1] offset0:102 offset1:153
	ds_write_b64 v28, v[26:27] offset:1632
	v_mad_u32_u24 v0, v134, s18, 0
	v_lshlrev_b32_sdwa v1, v4, v135 dst_sel:DWORD dst_unused:UNUSED_PAD src0_sel:DWORD src1_sel:BYTE_0
	v_add3_u32 v56, v0, v1, v99
	ds_write2_b64 v56, v[8:9], v[30:31] offset1:51
	ds_write2_b64 v56, v[35:36], v[2:3] offset0:102 offset1:153
	ds_write_b64 v56, v[24:25] offset:1632
	s_waitcnt lgkmcnt(0)
	s_barrier
	ds_read_b64 v[30:31], v100
	ds_read2_b64 v[0:3], v107 offset0:127 offset1:212
	ds_read2_b64 v[8:11], v102 offset0:169 offset1:254
	;; [unrolled: 1-line block ×7, first 2 shown]
	s_waitcnt lgkmcnt(0)
	s_barrier
	ds_write2_b64 v55, v[67:68], v[43:44] offset1:51
	ds_write2_b64 v55, v[75:76], v[77:78] offset0:102 offset1:153
	ds_write_b64 v55, v[41:42] offset:1632
	ds_write2_b64 v28, v[71:72], v[51:52] offset1:51
	ds_write2_b64 v28, v[79:80], v[45:46] offset0:102 offset1:153
	ds_write_b64 v28, v[69:70] offset:1632
	;; [unrolled: 3-line block ×3, first 2 shown]
	s_waitcnt lgkmcnt(0)
	s_barrier
	s_and_saveexec_b64 s[0:1], vcc
	s_cbranch_execz .LBB0_16
; %bb.15:
	v_lshlrev_b32_e32 v28, 2, v32
	v_lshlrev_b64 v[35:36], 4, v[28:29]
	v_mov_b32_e32 v95, s9
	v_add_co_u32_e32 v51, vcc, s8, v35
	v_addc_co_u32_e32 v52, vcc, v95, v36, vcc
	global_load_dwordx4 v[35:38], v[51:52], off offset:3856
	global_load_dwordx4 v[39:42], v[51:52], off offset:3840
	global_load_dwordx4 v[43:46], v[51:52], off offset:3824
	global_load_dwordx4 v[47:50], v[51:52], off offset:3808
	v_lshlrev_b32_e32 v28, 2, v33
	v_lshlrev_b64 v[51:52], 4, v[28:29]
	v_add_u32_e32 v28, 0x1000, v101
	v_add_co_u32_e32 v67, vcc, s8, v51
	v_addc_co_u32_e32 v68, vcc, v95, v52, vcc
	global_load_dwordx4 v[51:54], v[67:68], off offset:3824
	global_load_dwordx4 v[55:58], v[67:68], off offset:3808
	;; [unrolled: 1-line block ×4, first 2 shown]
	v_add_u32_e32 v75, 0x800, v101
	v_add_u32_e32 v79, 0x1800, v101
	;; [unrolled: 1-line block ×5, first 2 shown]
	ds_read2_b64 v[67:70], v101 offset0:85 offset1:170
	ds_read2_b64 v[71:74], v28 offset0:83 offset1:168
	;; [unrolled: 1-line block ×7, first 2 shown]
	v_lshlrev_b32_e32 v28, 2, v98
	v_lshlrev_b64 v[28:29], 4, v[28:29]
	v_add_co_u32_e32 v28, vcc, s8, v28
	v_addc_co_u32_e32 v29, vcc, v95, v29, vcc
	global_load_dwordx4 v[101:104], v[28:29], off offset:3856
	global_load_dwordx4 v[105:108], v[28:29], off offset:3840
	;; [unrolled: 1-line block ×4, first 2 shown]
	s_waitcnt vmcnt(11)
	v_mul_f64 v[121:122], v[26:27], v[37:38]
	s_waitcnt vmcnt(10)
	v_mul_f64 v[119:120], v[4:5], v[41:42]
	;; [unrolled: 2-line block ×4, first 2 shown]
	s_waitcnt lgkmcnt(4)
	v_mul_f64 v[49:50], v[75:76], v[49:50]
	s_waitcnt lgkmcnt(2)
	v_mul_f64 v[37:38], v[85:86], v[37:38]
	v_mul_f64 v[45:46], v[73:74], v[45:46]
	;; [unrolled: 1-line block ×3, first 2 shown]
	s_waitcnt vmcnt(7)
	v_mul_f64 v[123:124], v[20:21], v[53:54]
	s_waitcnt vmcnt(6)
	v_mul_f64 v[125:126], v[2:3], v[57:58]
	s_waitcnt lgkmcnt(1)
	v_mul_f64 v[57:58], v[89:90], v[57:58]
	v_mul_f64 v[53:54], v[71:72], v[53:54]
	v_fma_f64 v[28:29], v[73:74], v[43:44], v[28:29]
	v_fma_f64 v[73:74], v[75:76], v[47:48], v[117:118]
	;; [unrolled: 1-line block ×4, first 2 shown]
	s_waitcnt vmcnt(5)
	v_mul_f64 v[127:128], v[14:15], v[61:62]
	s_waitcnt vmcnt(4)
	v_mul_f64 v[129:130], v[24:25], v[65:66]
	v_mul_f64 v[65:66], v[83:84], v[65:66]
	s_waitcnt lgkmcnt(0)
	v_mul_f64 v[61:62], v[93:94], v[61:62]
	v_fma_f64 v[8:9], v[8:9], v[47:48], -v[49:50]
	v_fma_f64 v[26:27], v[26:27], v[35:36], -v[37:38]
	;; [unrolled: 1-line block ×4, first 2 shown]
	v_fma_f64 v[43:44], v[71:72], v[51:52], v[123:124]
	v_fma_f64 v[45:46], v[89:90], v[55:56], v[125:126]
	v_fma_f64 v[55:56], v[2:3], v[55:56], -v[57:58]
	v_fma_f64 v[51:52], v[20:21], v[51:52], -v[53:54]
	v_add_f64 v[2:3], v[28:29], -v[73:74]
	v_add_f64 v[4:5], v[75:76], -v[79:80]
	v_add_f64 v[20:21], v[73:74], v[79:80]
	v_add_f64 v[41:42], v[28:29], v[75:76]
	v_fma_f64 v[49:50], v[83:84], v[63:64], v[129:130]
	v_fma_f64 v[57:58], v[24:25], v[63:64], -v[65:66]
	v_fma_f64 v[53:54], v[14:15], v[59:60], -v[61:62]
	v_add_f64 v[14:15], v[8:9], -v[26:27]
	v_add_f64 v[24:25], v[22:23], -v[39:40]
	;; [unrolled: 1-line block ×6, first 2 shown]
	v_add_f64 v[71:72], v[8:9], v[26:27]
	v_add_f64 v[83:84], v[8:9], -v[22:23]
	v_add_f64 v[89:90], v[22:23], v[39:40]
	v_add_f64 v[8:9], v[18:19], v[8:9]
	;; [unrolled: 1-line block ×3, first 2 shown]
	v_fma_f64 v[4:5], v[20:21], -0.5, v[69:70]
	v_fma_f64 v[20:21], v[41:42], -0.5, v[69:70]
	v_fma_f64 v[47:48], v[93:94], v[59:60], v[127:128]
	v_add_f64 v[59:60], v[73:74], v[69:70]
	v_add_f64 v[73:74], v[73:74], -v[79:80]
	v_add_f64 v[121:122], v[45:46], v[49:50]
	v_add_f64 v[35:36], v[35:36], v[37:38]
	;; [unrolled: 1-line block ×3, first 2 shown]
	v_fma_f64 v[37:38], v[71:72], -0.5, v[18:19]
	v_fma_f64 v[18:19], v[89:90], -0.5, v[18:19]
	v_add_f64 v[8:9], v[22:23], v[8:9]
	v_fma_f64 v[22:23], v[24:25], s[6:7], v[4:5]
	v_fma_f64 v[4:5], v[24:25], s[2:3], v[4:5]
	;; [unrolled: 1-line block ×3, first 2 shown]
	v_add_f64 v[65:66], v[28:29], -v[75:76]
	v_add_f64 v[85:86], v[26:27], -v[39:40]
	v_add_f64 v[123:124], v[51:52], -v[53:54]
	v_fma_f64 v[61:62], v[121:122], -0.5, v[67:68]
	v_fma_f64 v[20:21], v[14:15], s[6:7], v[20:21]
	v_fma_f64 v[71:72], v[73:74], s[6:7], v[18:19]
	;; [unrolled: 1-line block ×6, first 2 shown]
	v_add_f64 v[93:94], v[43:44], -v[45:46]
	v_add_f64 v[117:118], v[47:48], -v[49:50]
	;; [unrolled: 1-line block ×3, first 2 shown]
	v_add_f64 v[125:126], v[43:44], v[47:48]
	v_add_f64 v[28:29], v[28:29], v[59:60]
	;; [unrolled: 1-line block ×3, first 2 shown]
	v_fma_f64 v[69:70], v[65:66], s[2:3], v[37:38]
	v_fma_f64 v[37:38], v[65:66], s[6:7], v[37:38]
	;; [unrolled: 1-line block ×14, first 2 shown]
	v_fma_f64 v[59:60], v[125:126], -0.5, v[67:68]
	v_add_f64 v[8:9], v[8:9], v[39:40]
	v_add_f64 v[39:40], v[93:94], v[117:118]
	v_fma_f64 v[14:15], v[119:120], s[4:5], v[14:15]
	v_fma_f64 v[61:62], v[123:124], s[2:3], v[61:62]
	v_add_f64 v[65:66], v[55:56], v[57:58]
	v_add_f64 v[28:29], v[75:76], v[28:29]
	v_fma_f64 v[18:19], v[41:42], s[16:17], v[69:70]
	v_fma_f64 v[22:23], v[41:42], s[16:17], v[73:74]
	v_add_f64 v[63:64], v[45:46], -v[43:44]
	v_add_f64 v[69:70], v[49:50], -v[47:48]
	v_fma_f64 v[71:72], v[119:120], s[2:3], v[59:60]
	v_add_f64 v[26:27], v[8:9], v[26:27]
	v_add_f64 v[8:9], v[45:46], v[67:68]
	v_fma_f64 v[41:42], v[39:40], s[16:17], v[14:15]
	v_fma_f64 v[14:15], v[119:120], s[10:11], v[61:62]
	v_add_f64 v[61:62], v[43:44], -v[47:48]
	v_fma_f64 v[65:66], v[65:66], -0.5, v[16:17]
	v_add_f64 v[28:29], v[79:80], v[28:29]
	v_add_f64 v[63:64], v[63:64], v[69:70]
	v_fma_f64 v[67:68], v[123:124], s[4:5], v[71:72]
	v_fma_f64 v[59:60], v[119:120], s[6:7], v[59:60]
	v_add_f64 v[43:44], v[43:44], v[8:9]
	v_add_f64 v[69:70], v[51:52], v[53:54]
	v_add_f64 v[71:72], v[51:52], -v[55:56]
	v_add_f64 v[73:74], v[53:54], -v[57:58]
	v_fma_f64 v[75:76], v[61:62], s[2:3], v[65:66]
	v_add_f64 v[79:80], v[45:46], -v[49:50]
	v_fma_f64 v[65:66], v[61:62], s[6:7], v[65:66]
	v_fma_f64 v[45:46], v[39:40], s[16:17], v[14:15]
	;; [unrolled: 1-line block ×3, first 2 shown]
	v_fma_f64 v[67:68], v[69:70], -0.5, v[16:17]
	v_fma_f64 v[14:15], v[123:124], s[10:11], v[59:60]
	v_add_f64 v[39:40], v[47:48], v[43:44]
	v_add_f64 v[43:44], v[71:72], v[73:74]
	v_fma_f64 v[47:48], v[79:80], s[10:11], v[75:76]
	v_fma_f64 v[59:60], v[79:80], s[4:5], v[65:66]
	v_add_f64 v[65:66], v[55:56], -v[51:52]
	v_add_f64 v[69:70], v[57:58], -v[53:54]
	v_fma_f64 v[71:72], v[79:80], s[6:7], v[67:68]
	v_fma_f64 v[14:15], v[63:64], s[16:17], v[14:15]
	v_add_f64 v[49:50], v[49:50], v[39:40]
	s_waitcnt vmcnt(0)
	v_mul_f64 v[63:64], v[0:1], v[115:116]
	v_fma_f64 v[39:40], v[43:44], s[16:17], v[47:48]
	v_mul_f64 v[47:48], v[6:7], v[103:104]
	v_fma_f64 v[43:44], v[43:44], s[16:17], v[59:60]
	v_add_f64 v[59:60], v[65:66], v[69:70]
	v_fma_f64 v[65:66], v[61:62], s[10:11], v[71:72]
	v_mul_f64 v[69:70], v[10:11], v[111:112]
	v_mul_f64 v[71:72], v[12:13], v[107:108]
	v_fma_f64 v[63:64], v[87:88], v[113:114], v[63:64]
	v_mul_f64 v[75:76], v[91:92], v[107:108]
	v_fma_f64 v[73:74], v[81:82], v[101:102], v[47:48]
	;; [unrolled: 2-line block ×3, first 2 shown]
	v_add_f64 v[16:17], v[16:17], v[55:56]
	v_fma_f64 v[55:56], v[77:78], v[109:110], v[69:70]
	v_mul_f64 v[69:70], v[87:88], v[115:116]
	v_mul_f64 v[77:78], v[81:82], v[103:104]
	v_fma_f64 v[71:72], v[91:92], v[105:106], v[71:72]
	v_add_f64 v[79:80], v[63:64], v[73:74]
	v_fma_f64 v[10:11], v[10:11], v[109:110], -v[47:48]
	v_fma_f64 v[75:76], v[12:13], v[105:106], -v[75:76]
	ds_read_b64 v[47:48], v100
	v_fma_f64 v[12:13], v[61:62], s[4:5], v[67:68]
	v_fma_f64 v[0:1], v[0:1], v[113:114], -v[69:70]
	v_fma_f64 v[67:68], v[6:7], v[101:102], -v[77:78]
	v_add_f64 v[61:62], v[55:56], v[71:72]
	v_add_f64 v[16:17], v[51:52], v[16:17]
	s_waitcnt lgkmcnt(0)
	v_fma_f64 v[51:52], v[79:80], -0.5, v[47:48]
	v_add_f64 v[69:70], v[10:11], -v[75:76]
	v_fma_f64 v[6:7], v[59:60], s[16:17], v[65:66]
	v_add_f64 v[65:66], v[55:56], -v[63:64]
	v_add_f64 v[77:78], v[71:72], -v[73:74]
	;; [unrolled: 1-line block ×3, first 2 shown]
	v_fma_f64 v[61:62], v[61:62], -0.5, v[47:48]
	v_fma_f64 v[12:13], v[59:60], s[16:17], v[12:13]
	v_add_f64 v[16:17], v[16:17], v[53:54]
	v_fma_f64 v[53:54], v[69:70], s[6:7], v[51:52]
	v_fma_f64 v[51:52], v[69:70], s[2:3], v[51:52]
	v_add_f64 v[59:60], v[63:64], -v[55:56]
	v_add_f64 v[81:82], v[73:74], -v[71:72]
	v_add_f64 v[65:66], v[65:66], v[77:78]
	v_fma_f64 v[77:78], v[79:80], s[2:3], v[61:62]
	v_fma_f64 v[61:62], v[79:80], s[6:7], v[61:62]
	v_add_f64 v[83:84], v[63:64], v[47:48]
	v_add_f64 v[47:48], v[16:17], v[57:58]
	v_fma_f64 v[16:17], v[79:80], s[10:11], v[51:52]
	v_fma_f64 v[53:54], v[79:80], s[4:5], v[53:54]
	v_add_f64 v[51:52], v[59:60], v[81:82]
	v_add_f64 v[59:60], v[0:1], v[67:68]
	;; [unrolled: 1-line block ×3, first 2 shown]
	v_fma_f64 v[77:78], v[69:70], s[4:5], v[77:78]
	v_fma_f64 v[69:70], v[69:70], s[10:11], v[61:62]
	v_add_f64 v[79:80], v[55:56], v[83:84]
	v_fma_f64 v[57:58], v[65:66], s[16:17], v[16:17]
	v_add_f64 v[16:17], v[55:56], -v[71:72]
	v_fma_f64 v[53:54], v[65:66], s[16:17], v[53:54]
	v_fma_f64 v[55:56], v[59:60], -0.5, v[30:31]
	v_add_f64 v[59:60], v[63:64], -v[73:74]
	v_fma_f64 v[63:64], v[81:82], -0.5, v[30:31]
	v_add_f64 v[30:31], v[30:31], v[0:1]
	v_fma_f64 v[61:62], v[51:52], s[16:17], v[77:78]
	v_fma_f64 v[65:66], v[51:52], s[16:17], v[69:70]
	v_add_f64 v[51:52], v[71:72], v[79:80]
	v_add_f64 v[71:72], v[10:11], -v[0:1]
	v_add_f64 v[77:78], v[75:76], -v[67:68]
	v_fma_f64 v[79:80], v[16:17], s[2:3], v[55:56]
	v_fma_f64 v[55:56], v[16:17], s[6:7], v[55:56]
	v_add_f64 v[0:1], v[0:1], -v[10:11]
	v_add_f64 v[81:82], v[67:68], -v[75:76]
	v_fma_f64 v[83:84], v[59:60], s[6:7], v[63:64]
	v_fma_f64 v[63:64], v[59:60], s[2:3], v[63:64]
	v_add_f64 v[10:11], v[10:11], v[30:31]
	v_add_f64 v[71:72], v[71:72], v[77:78]
	v_fma_f64 v[30:31], v[59:60], s[10:11], v[79:80]
	v_fma_f64 v[55:56], v[59:60], s[4:5], v[55:56]
	v_add_f64 v[69:70], v[73:74], v[51:52]
	v_add_f64 v[0:1], v[0:1], v[81:82]
	v_fma_f64 v[59:60], v[16:17], s[10:11], v[83:84]
	v_fma_f64 v[16:17], v[16:17], s[4:5], v[63:64]
	v_add_f64 v[10:11], v[10:11], v[75:76]
	v_mad_u64_u32 v[73:74], s[0:1], s12, v98, 0
	v_fma_f64 v[51:52], v[71:72], s[16:17], v[30:31]
	v_fma_f64 v[55:56], v[71:72], s[16:17], v[55:56]
	v_mov_b32_e32 v30, v74
	v_mad_u64_u32 v[30:31], s[0:1], s13, v98, v[30:31]
	v_fma_f64 v[59:60], v[0:1], s[16:17], v[59:60]
	v_fma_f64 v[63:64], v[0:1], s[16:17], v[16:17]
	v_mad_u64_u32 v[0:1], s[0:1], s12, v34, 0
	v_add_f64 v[67:68], v[10:11], v[67:68]
	v_mov_b32_e32 v74, v30
	v_mov_b32_e32 v10, s15
	v_add_co_u32_e32 v71, vcc, s14, v96
	v_mad_u64_u32 v[16:17], s[0:1], s13, v34, v[1:2]
	v_addc_co_u32_e32 v72, vcc, v10, v97, vcc
	v_lshlrev_b64 v[10:11], 4, v[73:74]
	v_mov_b32_e32 v1, v16
	v_add_co_u32_e32 v10, vcc, v71, v10
	v_addc_co_u32_e32 v11, vcc, v72, v11, vcc
	v_add_u32_e32 v16, 0x1fe, v98
	global_store_dwordx4 v[10:11], v[67:70], off
	v_mad_u64_u32 v[10:11], s[0:1], s12, v16, 0
	v_lshlrev_b64 v[0:1], 4, v[0:1]
	s_mov_b32 s2, 0x80808081
	v_mad_u64_u32 v[16:17], s[0:1], s13, v16, v[11:12]
	v_add_u32_e32 v17, 0x2fd, v98
	v_mad_u64_u32 v[30:31], s[0:1], s12, v17, 0
	v_add_co_u32_e32 v0, vcc, v71, v0
	v_addc_co_u32_e32 v1, vcc, v72, v1, vcc
	v_mov_b32_e32 v11, v16
	global_store_dwordx4 v[0:1], v[63:66], off
	v_lshlrev_b64 v[0:1], 4, v[10:11]
	v_mov_b32_e32 v10, v31
	v_mad_u64_u32 v[10:11], s[0:1], s13, v17, v[10:11]
	v_add_co_u32_e32 v0, vcc, v71, v0
	v_addc_co_u32_e32 v1, vcc, v72, v1, vcc
	v_mov_b32_e32 v31, v10
	v_add_u32_e32 v16, 0x3fc, v98
	global_store_dwordx4 v[0:1], v[55:58], off
	v_lshlrev_b64 v[0:1], 4, v[30:31]
	v_mad_u64_u32 v[10:11], s[0:1], s12, v16, 0
	v_add_co_u32_e32 v0, vcc, v71, v0
	v_addc_co_u32_e32 v1, vcc, v72, v1, vcc
	global_store_dwordx4 v[0:1], v[51:54], off
	v_mov_b32_e32 v0, v11
	v_mad_u64_u32 v[0:1], s[0:1], s13, v16, v[0:1]
	v_mul_hi_u32 v16, v33, s2
	s_movk_i32 s3, 0x3fc
	v_mov_b32_e32 v11, v0
	v_lshlrev_b64 v[0:1], 4, v[10:11]
	v_lshrrev_b32_e32 v10, 7, v16
	v_mad_u32_u24 v33, v10, s3, v33
	v_mad_u64_u32 v[10:11], s[0:1], s12, v33, 0
	v_add_co_u32_e32 v0, vcc, v71, v0
	v_mad_u64_u32 v[16:17], s[0:1], s13, v33, v[11:12]
	v_add_u32_e32 v17, 0xff, v33
	v_mad_u64_u32 v[30:31], s[0:1], s12, v17, 0
	v_addc_co_u32_e32 v1, vcc, v72, v1, vcc
	v_mov_b32_e32 v11, v16
	global_store_dwordx4 v[0:1], v[59:62], off
	v_lshlrev_b64 v[0:1], 4, v[10:11]
	v_mov_b32_e32 v10, v31
	v_mad_u64_u32 v[10:11], s[0:1], s13, v17, v[10:11]
	v_add_u32_e32 v16, 0x1fe, v33
	v_add_co_u32_e32 v0, vcc, v71, v0
	v_mov_b32_e32 v31, v10
	v_mad_u64_u32 v[10:11], s[0:1], s12, v16, 0
	v_addc_co_u32_e32 v1, vcc, v72, v1, vcc
	v_mad_u64_u32 v[16:17], s[0:1], s13, v16, v[11:12]
	v_add_u32_e32 v17, 0x2fd, v33
	global_store_dwordx4 v[0:1], v[47:50], off
	v_lshlrev_b64 v[0:1], 4, v[30:31]
	v_mad_u64_u32 v[30:31], s[0:1], s12, v17, 0
	v_add_co_u32_e32 v0, vcc, v71, v0
	v_addc_co_u32_e32 v1, vcc, v72, v1, vcc
	v_mov_b32_e32 v11, v16
	global_store_dwordx4 v[0:1], v[12:15], off
	v_lshlrev_b64 v[0:1], 4, v[10:11]
	v_mov_b32_e32 v10, v31
	v_mad_u64_u32 v[10:11], s[0:1], s13, v17, v[10:11]
	v_add_u32_e32 v12, 0x3fc, v33
	v_add_co_u32_e32 v0, vcc, v71, v0
	v_mov_b32_e32 v31, v10
	v_mad_u64_u32 v[10:11], s[0:1], s12, v12, 0
	v_mul_hi_u32 v13, v32, s2
	v_addc_co_u32_e32 v1, vcc, v72, v1, vcc
	global_store_dwordx4 v[0:1], v[43:46], off
	v_lshlrev_b64 v[0:1], 4, v[30:31]
	v_mad_u64_u32 v[11:12], s[0:1], s13, v12, v[11:12]
	v_add_co_u32_e32 v0, vcc, v71, v0
	v_lshrrev_b32_e32 v12, 7, v13
	v_addc_co_u32_e32 v1, vcc, v72, v1, vcc
	v_mad_u32_u24 v14, v12, s3, v32
	v_mad_u64_u32 v[12:13], s[0:1], s12, v14, 0
	global_store_dwordx4 v[0:1], v[39:42], off
	v_lshlrev_b64 v[0:1], 4, v[10:11]
	v_mov_b32_e32 v10, v13
	v_add_co_u32_e32 v0, vcc, v71, v0
	v_addc_co_u32_e32 v1, vcc, v72, v1, vcc
	global_store_dwordx4 v[0:1], v[6:9], off
	v_mad_u64_u32 v[10:11], s[0:1], s13, v14, v[10:11]
	v_add_u32_e32 v8, 0xff, v14
	v_mad_u64_u32 v[6:7], s[0:1], s12, v8, 0
	v_mov_b32_e32 v13, v10
	v_add_u32_e32 v10, 0x1fe, v14
	v_mad_u64_u32 v[7:8], s[0:1], s13, v8, v[7:8]
	v_lshlrev_b64 v[0:1], 4, v[12:13]
	v_mad_u64_u32 v[8:9], s[0:1], s12, v10, 0
	v_add_co_u32_e32 v0, vcc, v71, v0
	v_addc_co_u32_e32 v1, vcc, v72, v1, vcc
	global_store_dwordx4 v[0:1], v[26:29], off
	v_lshlrev_b64 v[0:1], 4, v[6:7]
	v_mov_b32_e32 v6, v9
	v_mad_u64_u32 v[6:7], s[0:1], s13, v10, v[6:7]
	v_add_co_u32_e32 v0, vcc, v71, v0
	v_addc_co_u32_e32 v1, vcc, v72, v1, vcc
	v_mov_b32_e32 v9, v6
	global_store_dwordx4 v[0:1], v[35:38], off
	v_lshlrev_b64 v[0:1], 4, v[8:9]
	v_add_u32_e32 v8, 0x2fd, v14
	v_mad_u64_u32 v[6:7], s[0:1], s12, v8, 0
	v_add_u32_e32 v10, 0x3fc, v14
	v_add_co_u32_e32 v0, vcc, v71, v0
	v_mad_u64_u32 v[7:8], s[0:1], s13, v8, v[7:8]
	v_mad_u64_u32 v[8:9], s[0:1], s12, v10, 0
	v_addc_co_u32_e32 v1, vcc, v72, v1, vcc
	global_store_dwordx4 v[0:1], v[22:25], off
	v_lshlrev_b64 v[0:1], 4, v[6:7]
	v_mov_b32_e32 v6, v9
	v_mad_u64_u32 v[6:7], s[0:1], s13, v10, v[6:7]
	v_add_co_u32_e32 v0, vcc, v71, v0
	v_addc_co_u32_e32 v1, vcc, v72, v1, vcc
	v_mov_b32_e32 v9, v6
	global_store_dwordx4 v[0:1], v[18:21], off
	v_lshlrev_b64 v[0:1], 4, v[8:9]
	v_add_co_u32_e32 v0, vcc, v71, v0
	v_addc_co_u32_e32 v1, vcc, v72, v1, vcc
	global_store_dwordx4 v[0:1], v[2:5], off
.LBB0_16:
	s_endpgm
	.section	.rodata,"a",@progbits
	.p2align	6, 0x0
	.amdhsa_kernel fft_rtc_fwd_len1275_factors_17_3_5_5_wgs_255_tpt_85_halfLds_dp_ip_CI_sbrr_dirReg
		.amdhsa_group_segment_fixed_size 0
		.amdhsa_private_segment_fixed_size 0
		.amdhsa_kernarg_size 88
		.amdhsa_user_sgpr_count 6
		.amdhsa_user_sgpr_private_segment_buffer 1
		.amdhsa_user_sgpr_dispatch_ptr 0
		.amdhsa_user_sgpr_queue_ptr 0
		.amdhsa_user_sgpr_kernarg_segment_ptr 1
		.amdhsa_user_sgpr_dispatch_id 0
		.amdhsa_user_sgpr_flat_scratch_init 0
		.amdhsa_user_sgpr_private_segment_size 0
		.amdhsa_uses_dynamic_stack 0
		.amdhsa_system_sgpr_private_segment_wavefront_offset 0
		.amdhsa_system_sgpr_workgroup_id_x 1
		.amdhsa_system_sgpr_workgroup_id_y 0
		.amdhsa_system_sgpr_workgroup_id_z 0
		.amdhsa_system_sgpr_workgroup_info 0
		.amdhsa_system_vgpr_workitem_id 0
		.amdhsa_next_free_vgpr 236
		.amdhsa_next_free_sgpr 58
		.amdhsa_reserve_vcc 1
		.amdhsa_reserve_flat_scratch 0
		.amdhsa_float_round_mode_32 0
		.amdhsa_float_round_mode_16_64 0
		.amdhsa_float_denorm_mode_32 3
		.amdhsa_float_denorm_mode_16_64 3
		.amdhsa_dx10_clamp 1
		.amdhsa_ieee_mode 1
		.amdhsa_fp16_overflow 0
		.amdhsa_exception_fp_ieee_invalid_op 0
		.amdhsa_exception_fp_denorm_src 0
		.amdhsa_exception_fp_ieee_div_zero 0
		.amdhsa_exception_fp_ieee_overflow 0
		.amdhsa_exception_fp_ieee_underflow 0
		.amdhsa_exception_fp_ieee_inexact 0
		.amdhsa_exception_int_div_zero 0
	.end_amdhsa_kernel
	.text
.Lfunc_end0:
	.size	fft_rtc_fwd_len1275_factors_17_3_5_5_wgs_255_tpt_85_halfLds_dp_ip_CI_sbrr_dirReg, .Lfunc_end0-fft_rtc_fwd_len1275_factors_17_3_5_5_wgs_255_tpt_85_halfLds_dp_ip_CI_sbrr_dirReg
                                        ; -- End function
	.section	.AMDGPU.csdata,"",@progbits
; Kernel info:
; codeLenInByte = 15880
; NumSgprs: 62
; NumVgprs: 236
; ScratchSize: 0
; MemoryBound: 1
; FloatMode: 240
; IeeeMode: 1
; LDSByteSize: 0 bytes/workgroup (compile time only)
; SGPRBlocks: 7
; VGPRBlocks: 58
; NumSGPRsForWavesPerEU: 62
; NumVGPRsForWavesPerEU: 236
; Occupancy: 1
; WaveLimiterHint : 1
; COMPUTE_PGM_RSRC2:SCRATCH_EN: 0
; COMPUTE_PGM_RSRC2:USER_SGPR: 6
; COMPUTE_PGM_RSRC2:TRAP_HANDLER: 0
; COMPUTE_PGM_RSRC2:TGID_X_EN: 1
; COMPUTE_PGM_RSRC2:TGID_Y_EN: 0
; COMPUTE_PGM_RSRC2:TGID_Z_EN: 0
; COMPUTE_PGM_RSRC2:TIDIG_COMP_CNT: 0
	.type	__hip_cuid_53f829008a5ec681,@object ; @__hip_cuid_53f829008a5ec681
	.section	.bss,"aw",@nobits
	.globl	__hip_cuid_53f829008a5ec681
__hip_cuid_53f829008a5ec681:
	.byte	0                               ; 0x0
	.size	__hip_cuid_53f829008a5ec681, 1

	.ident	"AMD clang version 19.0.0git (https://github.com/RadeonOpenCompute/llvm-project roc-6.4.0 25133 c7fe45cf4b819c5991fe208aaa96edf142730f1d)"
	.section	".note.GNU-stack","",@progbits
	.addrsig
	.addrsig_sym __hip_cuid_53f829008a5ec681
	.amdgpu_metadata
---
amdhsa.kernels:
  - .args:
      - .actual_access:  read_only
        .address_space:  global
        .offset:         0
        .size:           8
        .value_kind:     global_buffer
      - .offset:         8
        .size:           8
        .value_kind:     by_value
      - .actual_access:  read_only
        .address_space:  global
        .offset:         16
        .size:           8
        .value_kind:     global_buffer
      - .actual_access:  read_only
        .address_space:  global
        .offset:         24
        .size:           8
        .value_kind:     global_buffer
      - .offset:         32
        .size:           8
        .value_kind:     by_value
      - .actual_access:  read_only
        .address_space:  global
        .offset:         40
        .size:           8
        .value_kind:     global_buffer
      - .actual_access:  read_only
        .address_space:  global
        .offset:         48
        .size:           8
        .value_kind:     global_buffer
      - .offset:         56
        .size:           4
        .value_kind:     by_value
      - .actual_access:  read_only
        .address_space:  global
        .offset:         64
        .size:           8
        .value_kind:     global_buffer
      - .actual_access:  read_only
        .address_space:  global
        .offset:         72
        .size:           8
        .value_kind:     global_buffer
      - .address_space:  global
        .offset:         80
        .size:           8
        .value_kind:     global_buffer
    .group_segment_fixed_size: 0
    .kernarg_segment_align: 8
    .kernarg_segment_size: 88
    .language:       OpenCL C
    .language_version:
      - 2
      - 0
    .max_flat_workgroup_size: 255
    .name:           fft_rtc_fwd_len1275_factors_17_3_5_5_wgs_255_tpt_85_halfLds_dp_ip_CI_sbrr_dirReg
    .private_segment_fixed_size: 0
    .sgpr_count:     62
    .sgpr_spill_count: 0
    .symbol:         fft_rtc_fwd_len1275_factors_17_3_5_5_wgs_255_tpt_85_halfLds_dp_ip_CI_sbrr_dirReg.kd
    .uniform_work_group_size: 1
    .uses_dynamic_stack: false
    .vgpr_count:     236
    .vgpr_spill_count: 0
    .wavefront_size: 64
amdhsa.target:   amdgcn-amd-amdhsa--gfx906
amdhsa.version:
  - 1
  - 2
...

	.end_amdgpu_metadata
